;; amdgpu-corpus repo=ROCm/rocFFT kind=compiled arch=gfx1201 opt=O3
	.text
	.amdgcn_target "amdgcn-amd-amdhsa--gfx1201"
	.amdhsa_code_object_version 6
	.protected	fft_rtc_fwd_len476_factors_17_2_7_2_wgs_102_tpt_34_halfLds_dp_op_CI_CI_unitstride_sbrr_C2R_dirReg ; -- Begin function fft_rtc_fwd_len476_factors_17_2_7_2_wgs_102_tpt_34_halfLds_dp_op_CI_CI_unitstride_sbrr_C2R_dirReg
	.globl	fft_rtc_fwd_len476_factors_17_2_7_2_wgs_102_tpt_34_halfLds_dp_op_CI_CI_unitstride_sbrr_C2R_dirReg
	.p2align	8
	.type	fft_rtc_fwd_len476_factors_17_2_7_2_wgs_102_tpt_34_halfLds_dp_op_CI_CI_unitstride_sbrr_C2R_dirReg,@function
fft_rtc_fwd_len476_factors_17_2_7_2_wgs_102_tpt_34_halfLds_dp_op_CI_CI_unitstride_sbrr_C2R_dirReg: ; @fft_rtc_fwd_len476_factors_17_2_7_2_wgs_102_tpt_34_halfLds_dp_op_CI_CI_unitstride_sbrr_C2R_dirReg
; %bb.0:
	s_load_b128 s[8:11], s[0:1], 0x0
	v_mul_u32_u24_e32 v1, 0x788, v0
	s_clause 0x1
	s_load_b128 s[4:7], s[0:1], 0x58
	s_load_b128 s[12:15], s[0:1], 0x18
	v_mov_b32_e32 v5, 0
	v_lshrrev_b32_e32 v3, 16, v1
	v_mov_b32_e32 v1, 0
	v_mov_b32_e32 v2, 0
	s_delay_alu instid0(VALU_DEP_3) | instskip(NEXT) | instid1(VALU_DEP_2)
	v_mad_co_u64_u32 v[3:4], null, ttmp9, 3, v[3:4]
	v_dual_mov_b32 v4, v5 :: v_dual_mov_b32 v69, v2
	s_delay_alu instid0(VALU_DEP_1) | instskip(NEXT) | instid1(VALU_DEP_3)
	v_dual_mov_b32 v68, v1 :: v_dual_mov_b32 v73, v4
	v_mov_b32_e32 v72, v3
	s_wait_kmcnt 0x0
	v_cmp_lt_u64_e64 s2, s[10:11], 2
	s_delay_alu instid0(VALU_DEP_1)
	s_and_b32 vcc_lo, exec_lo, s2
	s_cbranch_vccnz .LBB0_8
; %bb.1:
	s_load_b64 s[2:3], s[0:1], 0x10
	v_dual_mov_b32 v1, 0 :: v_dual_mov_b32 v8, v4
	v_dual_mov_b32 v2, 0 :: v_dual_mov_b32 v7, v3
	s_add_nc_u64 s[16:17], s[14:15], 8
	s_add_nc_u64 s[18:19], s[12:13], 8
	s_mov_b64 s[20:21], 1
	s_delay_alu instid0(VALU_DEP_1)
	v_dual_mov_b32 v69, v2 :: v_dual_mov_b32 v68, v1
	s_wait_kmcnt 0x0
	s_add_nc_u64 s[22:23], s[2:3], 8
	s_mov_b32 s3, 0
.LBB0_2:                                ; =>This Inner Loop Header: Depth=1
	s_load_b64 s[24:25], s[22:23], 0x0
                                        ; implicit-def: $vgpr72_vgpr73
	s_mov_b32 s2, exec_lo
	s_wait_kmcnt 0x0
	v_or_b32_e32 v6, s25, v8
	s_delay_alu instid0(VALU_DEP_1)
	v_cmpx_ne_u64_e32 0, v[5:6]
	s_wait_alu 0xfffe
	s_xor_b32 s26, exec_lo, s2
	s_cbranch_execz .LBB0_4
; %bb.3:                                ;   in Loop: Header=BB0_2 Depth=1
	s_cvt_f32_u32 s2, s24
	s_cvt_f32_u32 s27, s25
	s_sub_nc_u64 s[30:31], 0, s[24:25]
	s_wait_alu 0xfffe
	s_delay_alu instid0(SALU_CYCLE_1) | instskip(SKIP_1) | instid1(SALU_CYCLE_2)
	s_fmamk_f32 s2, s27, 0x4f800000, s2
	s_wait_alu 0xfffe
	v_s_rcp_f32 s2, s2
	s_delay_alu instid0(TRANS32_DEP_1) | instskip(SKIP_1) | instid1(SALU_CYCLE_2)
	s_mul_f32 s2, s2, 0x5f7ffffc
	s_wait_alu 0xfffe
	s_mul_f32 s27, s2, 0x2f800000
	s_wait_alu 0xfffe
	s_delay_alu instid0(SALU_CYCLE_2) | instskip(SKIP_1) | instid1(SALU_CYCLE_2)
	s_trunc_f32 s27, s27
	s_wait_alu 0xfffe
	s_fmamk_f32 s2, s27, 0xcf800000, s2
	s_cvt_u32_f32 s29, s27
	s_wait_alu 0xfffe
	s_delay_alu instid0(SALU_CYCLE_1) | instskip(SKIP_1) | instid1(SALU_CYCLE_2)
	s_cvt_u32_f32 s28, s2
	s_wait_alu 0xfffe
	s_mul_u64 s[34:35], s[30:31], s[28:29]
	s_wait_alu 0xfffe
	s_mul_hi_u32 s37, s28, s35
	s_mul_i32 s36, s28, s35
	s_mul_hi_u32 s2, s28, s34
	s_mul_i32 s33, s29, s34
	s_wait_alu 0xfffe
	s_add_nc_u64 s[36:37], s[2:3], s[36:37]
	s_mul_hi_u32 s27, s29, s34
	s_mul_hi_u32 s38, s29, s35
	s_add_co_u32 s2, s36, s33
	s_wait_alu 0xfffe
	s_add_co_ci_u32 s2, s37, s27
	s_mul_i32 s34, s29, s35
	s_add_co_ci_u32 s35, s38, 0
	s_wait_alu 0xfffe
	s_add_nc_u64 s[34:35], s[2:3], s[34:35]
	s_wait_alu 0xfffe
	v_add_co_u32 v4, s2, s28, s34
	s_delay_alu instid0(VALU_DEP_1) | instskip(SKIP_1) | instid1(VALU_DEP_1)
	s_cmp_lg_u32 s2, 0
	s_add_co_ci_u32 s29, s29, s35
	v_readfirstlane_b32 s28, v4
	s_wait_alu 0xfffe
	s_delay_alu instid0(VALU_DEP_1)
	s_mul_u64 s[30:31], s[30:31], s[28:29]
	s_wait_alu 0xfffe
	s_mul_hi_u32 s35, s28, s31
	s_mul_i32 s34, s28, s31
	s_mul_hi_u32 s2, s28, s30
	s_mul_i32 s33, s29, s30
	s_wait_alu 0xfffe
	s_add_nc_u64 s[34:35], s[2:3], s[34:35]
	s_mul_hi_u32 s27, s29, s30
	s_mul_hi_u32 s28, s29, s31
	s_wait_alu 0xfffe
	s_add_co_u32 s2, s34, s33
	s_add_co_ci_u32 s2, s35, s27
	s_mul_i32 s30, s29, s31
	s_add_co_ci_u32 s31, s28, 0
	s_wait_alu 0xfffe
	s_add_nc_u64 s[30:31], s[2:3], s[30:31]
	s_wait_alu 0xfffe
	v_add_co_u32 v4, s2, v4, s30
	s_delay_alu instid0(VALU_DEP_1) | instskip(SKIP_1) | instid1(VALU_DEP_1)
	s_cmp_lg_u32 s2, 0
	s_add_co_ci_u32 s2, s29, s31
	v_mul_hi_u32 v6, v7, v4
	s_wait_alu 0xfffe
	v_mad_co_u64_u32 v[9:10], null, v7, s2, 0
	v_mad_co_u64_u32 v[11:12], null, v8, v4, 0
	;; [unrolled: 1-line block ×3, first 2 shown]
	s_delay_alu instid0(VALU_DEP_3) | instskip(SKIP_1) | instid1(VALU_DEP_4)
	v_add_co_u32 v4, vcc_lo, v6, v9
	s_wait_alu 0xfffd
	v_add_co_ci_u32_e32 v6, vcc_lo, 0, v10, vcc_lo
	s_delay_alu instid0(VALU_DEP_2) | instskip(SKIP_1) | instid1(VALU_DEP_2)
	v_add_co_u32 v4, vcc_lo, v4, v11
	s_wait_alu 0xfffd
	v_add_co_ci_u32_e32 v4, vcc_lo, v6, v12, vcc_lo
	s_wait_alu 0xfffd
	v_add_co_ci_u32_e32 v6, vcc_lo, 0, v14, vcc_lo
	s_delay_alu instid0(VALU_DEP_2) | instskip(SKIP_1) | instid1(VALU_DEP_2)
	v_add_co_u32 v4, vcc_lo, v4, v13
	s_wait_alu 0xfffd
	v_add_co_ci_u32_e32 v6, vcc_lo, 0, v6, vcc_lo
	s_delay_alu instid0(VALU_DEP_2) | instskip(SKIP_1) | instid1(VALU_DEP_3)
	v_mul_lo_u32 v11, s25, v4
	v_mad_co_u64_u32 v[9:10], null, s24, v4, 0
	v_mul_lo_u32 v12, s24, v6
	s_delay_alu instid0(VALU_DEP_2) | instskip(NEXT) | instid1(VALU_DEP_2)
	v_sub_co_u32 v9, vcc_lo, v7, v9
	v_add3_u32 v10, v10, v12, v11
	s_delay_alu instid0(VALU_DEP_1) | instskip(SKIP_1) | instid1(VALU_DEP_1)
	v_sub_nc_u32_e32 v11, v8, v10
	s_wait_alu 0xfffd
	v_subrev_co_ci_u32_e64 v11, s2, s25, v11, vcc_lo
	v_add_co_u32 v12, s2, v4, 2
	s_wait_alu 0xf1ff
	v_add_co_ci_u32_e64 v13, s2, 0, v6, s2
	v_sub_co_u32 v14, s2, v9, s24
	v_sub_co_ci_u32_e32 v10, vcc_lo, v8, v10, vcc_lo
	s_wait_alu 0xf1ff
	v_subrev_co_ci_u32_e64 v11, s2, 0, v11, s2
	s_delay_alu instid0(VALU_DEP_3) | instskip(NEXT) | instid1(VALU_DEP_3)
	v_cmp_le_u32_e32 vcc_lo, s24, v14
	v_cmp_eq_u32_e64 s2, s25, v10
	s_wait_alu 0xfffd
	v_cndmask_b32_e64 v14, 0, -1, vcc_lo
	v_cmp_le_u32_e32 vcc_lo, s25, v11
	s_wait_alu 0xfffd
	v_cndmask_b32_e64 v15, 0, -1, vcc_lo
	v_cmp_le_u32_e32 vcc_lo, s24, v9
	;; [unrolled: 3-line block ×3, first 2 shown]
	s_wait_alu 0xfffd
	v_cndmask_b32_e64 v16, 0, -1, vcc_lo
	v_cmp_eq_u32_e32 vcc_lo, s25, v11
	s_wait_alu 0xf1ff
	s_delay_alu instid0(VALU_DEP_2)
	v_cndmask_b32_e64 v9, v16, v9, s2
	s_wait_alu 0xfffd
	v_cndmask_b32_e32 v11, v15, v14, vcc_lo
	v_add_co_u32 v14, vcc_lo, v4, 1
	s_wait_alu 0xfffd
	v_add_co_ci_u32_e32 v15, vcc_lo, 0, v6, vcc_lo
	s_delay_alu instid0(VALU_DEP_3) | instskip(SKIP_1) | instid1(VALU_DEP_2)
	v_cmp_ne_u32_e32 vcc_lo, 0, v11
	s_wait_alu 0xfffd
	v_dual_cndmask_b32 v10, v15, v13 :: v_dual_cndmask_b32 v11, v14, v12
	v_cmp_ne_u32_e32 vcc_lo, 0, v9
	s_wait_alu 0xfffd
	s_delay_alu instid0(VALU_DEP_2)
	v_dual_cndmask_b32 v73, v6, v10 :: v_dual_cndmask_b32 v72, v4, v11
.LBB0_4:                                ;   in Loop: Header=BB0_2 Depth=1
	s_wait_alu 0xfffe
	s_and_not1_saveexec_b32 s2, s26
	s_cbranch_execz .LBB0_6
; %bb.5:                                ;   in Loop: Header=BB0_2 Depth=1
	v_cvt_f32_u32_e32 v4, s24
	s_sub_co_i32 s26, 0, s24
	v_mov_b32_e32 v73, v5
	s_delay_alu instid0(VALU_DEP_2) | instskip(NEXT) | instid1(TRANS32_DEP_1)
	v_rcp_iflag_f32_e32 v4, v4
	v_mul_f32_e32 v4, 0x4f7ffffe, v4
	s_delay_alu instid0(VALU_DEP_1) | instskip(SKIP_1) | instid1(VALU_DEP_1)
	v_cvt_u32_f32_e32 v4, v4
	s_wait_alu 0xfffe
	v_mul_lo_u32 v6, s26, v4
	s_delay_alu instid0(VALU_DEP_1) | instskip(NEXT) | instid1(VALU_DEP_1)
	v_mul_hi_u32 v6, v4, v6
	v_add_nc_u32_e32 v4, v4, v6
	s_delay_alu instid0(VALU_DEP_1) | instskip(NEXT) | instid1(VALU_DEP_1)
	v_mul_hi_u32 v4, v7, v4
	v_mul_lo_u32 v6, v4, s24
	s_delay_alu instid0(VALU_DEP_1) | instskip(NEXT) | instid1(VALU_DEP_1)
	v_sub_nc_u32_e32 v6, v7, v6
	v_subrev_nc_u32_e32 v10, s24, v6
	v_cmp_le_u32_e32 vcc_lo, s24, v6
	s_wait_alu 0xfffd
	s_delay_alu instid0(VALU_DEP_2) | instskip(NEXT) | instid1(VALU_DEP_1)
	v_dual_cndmask_b32 v6, v6, v10 :: v_dual_add_nc_u32 v9, 1, v4
	v_cndmask_b32_e32 v4, v4, v9, vcc_lo
	s_delay_alu instid0(VALU_DEP_2) | instskip(NEXT) | instid1(VALU_DEP_2)
	v_cmp_le_u32_e32 vcc_lo, s24, v6
	v_add_nc_u32_e32 v9, 1, v4
	s_wait_alu 0xfffd
	s_delay_alu instid0(VALU_DEP_1)
	v_cndmask_b32_e32 v72, v4, v9, vcc_lo
.LBB0_6:                                ;   in Loop: Header=BB0_2 Depth=1
	s_wait_alu 0xfffe
	s_or_b32 exec_lo, exec_lo, s2
	v_mul_lo_u32 v4, v73, s24
	s_delay_alu instid0(VALU_DEP_2)
	v_mul_lo_u32 v6, v72, s25
	s_load_b64 s[26:27], s[18:19], 0x0
	v_mad_co_u64_u32 v[9:10], null, v72, s24, 0
	s_load_b64 s[24:25], s[16:17], 0x0
	s_add_nc_u64 s[20:21], s[20:21], 1
	s_add_nc_u64 s[16:17], s[16:17], 8
	s_wait_alu 0xfffe
	v_cmp_ge_u64_e64 s2, s[20:21], s[10:11]
	s_add_nc_u64 s[18:19], s[18:19], 8
	s_add_nc_u64 s[22:23], s[22:23], 8
	v_add3_u32 v4, v10, v6, v4
	v_sub_co_u32 v6, vcc_lo, v7, v9
	s_wait_alu 0xfffd
	s_delay_alu instid0(VALU_DEP_2) | instskip(SKIP_2) | instid1(VALU_DEP_1)
	v_sub_co_ci_u32_e32 v4, vcc_lo, v8, v4, vcc_lo
	s_and_b32 vcc_lo, exec_lo, s2
	s_wait_kmcnt 0x0
	v_mul_lo_u32 v7, s26, v4
	v_mul_lo_u32 v8, s27, v6
	v_mad_co_u64_u32 v[1:2], null, s26, v6, v[1:2]
	v_mul_lo_u32 v4, s24, v4
	v_mul_lo_u32 v9, s25, v6
	v_mad_co_u64_u32 v[68:69], null, s24, v6, v[68:69]
	s_delay_alu instid0(VALU_DEP_4) | instskip(NEXT) | instid1(VALU_DEP_2)
	v_add3_u32 v2, v8, v2, v7
	v_add3_u32 v69, v9, v69, v4
	s_wait_alu 0xfffe
	s_cbranch_vccnz .LBB0_8
; %bb.7:                                ;   in Loop: Header=BB0_2 Depth=1
	v_dual_mov_b32 v7, v72 :: v_dual_mov_b32 v8, v73
	s_branch .LBB0_2
.LBB0_8:
	s_load_b64 s[0:1], s[0:1], 0x28
	v_mul_hi_u32 v4, 0xaaaaaaab, v3
	v_mul_hi_u32 v6, 0x7878788, v0
	s_lshl_b64 s[10:11], s[10:11], 3
                                        ; implicit-def: $vgpr70
	s_wait_alu 0xfffe
	s_add_nc_u64 s[2:3], s[14:15], s[10:11]
	s_delay_alu instid0(VALU_DEP_2) | instskip(NEXT) | instid1(VALU_DEP_1)
	v_lshrrev_b32_e32 v4, 1, v4
	v_lshl_add_u32 v4, v4, 1, v4
	s_delay_alu instid0(VALU_DEP_1) | instskip(SKIP_3) | instid1(VALU_DEP_1)
	v_sub_nc_u32_e32 v3, v3, v4
	s_wait_kmcnt 0x0
	v_cmp_gt_u64_e32 vcc_lo, s[0:1], v[72:73]
	v_cmp_le_u64_e64 s0, s[0:1], v[72:73]
                                        ; implicit-def: $vgpr4_vgpr5
	s_and_saveexec_b32 s1, s0
	s_wait_alu 0xfffe
	s_xor_b32 s0, exec_lo, s1
; %bb.9:
	v_mul_u32_u24_e32 v1, 34, v6
	v_mov_b32_e32 v71, 0
                                        ; implicit-def: $vgpr6
	s_delay_alu instid0(VALU_DEP_2) | instskip(NEXT) | instid1(VALU_DEP_1)
	v_sub_nc_u32_e32 v70, v0, v1
                                        ; implicit-def: $vgpr0
                                        ; implicit-def: $vgpr1_vgpr2
	v_dual_mov_b32 v4, v70 :: v_dual_mov_b32 v5, v71
; %bb.10:
	s_wait_alu 0xfffe
	s_or_saveexec_b32 s1, s0
	s_load_b64 s[2:3], s[2:3], 0x0
	v_mul_u32_u24_e32 v10, 0x1dd, v3
	s_delay_alu instid0(VALU_DEP_1)
	v_lshlrev_b32_e32 v255, 4, v10
	s_xor_b32 exec_lo, exec_lo, s1
	s_cbranch_execz .LBB0_14
; %bb.11:
	s_add_nc_u64 s[10:11], s[12:13], s[10:11]
	v_lshlrev_b64_e32 v[1:2], 4, v[1:2]
	s_load_b64 s[10:11], s[10:11], 0x0
	v_mov_b32_e32 v71, 0
	s_wait_kmcnt 0x0
	v_mul_lo_u32 v5, s11, v72
	v_mul_lo_u32 v7, s10, v73
	v_mad_co_u64_u32 v[3:4], null, s10, v72, 0
	s_delay_alu instid0(VALU_DEP_1) | instskip(SKIP_1) | instid1(VALU_DEP_2)
	v_add3_u32 v4, v4, v7, v5
	v_mul_u32_u24_e32 v5, 34, v6
	v_lshlrev_b64_e32 v[3:4], 4, v[3:4]
	s_delay_alu instid0(VALU_DEP_2) | instskip(NEXT) | instid1(VALU_DEP_2)
	v_sub_nc_u32_e32 v70, v0, v5
	v_add_co_u32 v0, s0, s4, v3
	s_wait_alu 0xf1ff
	s_delay_alu instid0(VALU_DEP_3) | instskip(NEXT) | instid1(VALU_DEP_3)
	v_add_co_ci_u32_e64 v3, s0, s5, v4, s0
	v_lshlrev_b32_e32 v4, 4, v70
	s_delay_alu instid0(VALU_DEP_3) | instskip(SKIP_1) | instid1(VALU_DEP_3)
	v_add_co_u32 v0, s0, v0, v1
	s_wait_alu 0xf1ff
	v_add_co_ci_u32_e64 v1, s0, v3, v2, s0
	s_mov_b32 s4, exec_lo
	s_delay_alu instid0(VALU_DEP_2) | instskip(SKIP_1) | instid1(VALU_DEP_2)
	v_add_co_u32 v2, s0, v0, v4
	s_wait_alu 0xf1ff
	v_add_co_ci_u32_e64 v3, s0, 0, v1, s0
	s_clause 0xd
	global_load_b128 v[6:9], v[2:3], off
	global_load_b128 v[11:14], v[2:3], off offset:544
	global_load_b128 v[15:18], v[2:3], off offset:1088
	;; [unrolled: 1-line block ×13, first 2 shown]
	v_add3_u32 v2, 0, v255, v4
	v_dual_mov_b32 v4, v70 :: v_dual_mov_b32 v5, v71
	s_wait_loadcnt 0xd
	ds_store_b128 v2, v[6:9]
	s_wait_loadcnt 0xc
	ds_store_b128 v2, v[11:14] offset:544
	s_wait_loadcnt 0xb
	ds_store_b128 v2, v[15:18] offset:1088
	s_wait_loadcnt 0xa
	ds_store_b128 v2, v[19:22] offset:1632
	s_wait_loadcnt 0x9
	ds_store_b128 v2, v[23:26] offset:2176
	s_wait_loadcnt 0x8
	ds_store_b128 v2, v[27:30] offset:2720
	s_wait_loadcnt 0x7
	ds_store_b128 v2, v[31:34] offset:3264
	s_wait_loadcnt 0x6
	ds_store_b128 v2, v[35:38] offset:3808
	s_wait_loadcnt 0x5
	ds_store_b128 v2, v[39:42] offset:4352
	s_wait_loadcnt 0x4
	ds_store_b128 v2, v[43:46] offset:4896
	s_wait_loadcnt 0x3
	ds_store_b128 v2, v[47:50] offset:5440
	s_wait_loadcnt 0x2
	ds_store_b128 v2, v[51:54] offset:5984
	s_wait_loadcnt 0x1
	ds_store_b128 v2, v[55:58] offset:6528
	s_wait_loadcnt 0x0
	ds_store_b128 v2, v[59:62] offset:7072
	v_cmpx_eq_u32_e32 33, v70
	s_cbranch_execz .LBB0_13
; %bb.12:
	global_load_b128 v[6:9], v[0:1], off offset:7616
	v_mov_b32_e32 v4, 33
	v_dual_mov_b32 v5, 0 :: v_dual_mov_b32 v70, 33
	s_wait_loadcnt 0x0
	ds_store_b128 v2, v[6:9] offset:7088
.LBB0_13:
	s_wait_alu 0xfffe
	s_or_b32 exec_lo, exec_lo, s4
.LBB0_14:
	s_delay_alu instid0(SALU_CYCLE_1)
	s_or_b32 exec_lo, exec_lo, s1
	v_lshl_add_u32 v94, v10, 4, 0
	v_lshlrev_b32_e32 v0, 4, v70
	global_wb scope:SCOPE_SE
	s_wait_dscnt 0x0
	s_wait_kmcnt 0x0
	s_barrier_signal -1
	s_barrier_wait -1
	global_inv scope:SCOPE_SE
	v_add_nc_u32_e32 v92, v94, v0
	v_sub_nc_u32_e32 v11, v94, v0
	v_lshlrev_b64_e32 v[115:116], 4, v[4:5]
	s_mov_b32 s1, exec_lo
	ds_load_b64 v[6:7], v92
	ds_load_b64 v[8:9], v11 offset:7616
	s_wait_dscnt 0x0
	v_add_f64_e32 v[0:1], v[6:7], v[8:9]
	v_add_f64_e64 v[2:3], v[6:7], -v[8:9]
	v_cmpx_ne_u32_e32 0, v70
	s_wait_alu 0xfffe
	s_xor_b32 s1, exec_lo, s1
	s_cbranch_execz .LBB0_16
; %bb.15:
	v_add_co_u32 v0, s0, s8, v115
	s_wait_alu 0xf1ff
	v_add_co_ci_u32_e64 v1, s0, s9, v116, s0
	v_add_f64_e32 v[14:15], v[6:7], v[8:9]
	v_add_f64_e64 v[8:9], v[6:7], -v[8:9]
	global_load_b128 v[2:5], v[0:1], off offset:7344
	ds_load_b64 v[0:1], v11 offset:7624
	ds_load_b64 v[12:13], v92 offset:8
	s_wait_dscnt 0x0
	v_add_f64_e32 v[6:7], v[0:1], v[12:13]
	v_add_f64_e64 v[0:1], v[12:13], -v[0:1]
	s_wait_loadcnt 0x0
	v_fma_f64 v[12:13], v[8:9], v[4:5], v[14:15]
	v_fma_f64 v[14:15], -v[8:9], v[4:5], v[14:15]
	s_delay_alu instid0(VALU_DEP_3) | instskip(SKIP_1) | instid1(VALU_DEP_4)
	v_fma_f64 v[16:17], v[6:7], v[4:5], -v[0:1]
	v_fma_f64 v[18:19], v[6:7], v[4:5], v[0:1]
	v_fma_f64 v[0:1], -v[6:7], v[2:3], v[12:13]
	s_delay_alu instid0(VALU_DEP_4) | instskip(NEXT) | instid1(VALU_DEP_4)
	v_fma_f64 v[4:5], v[6:7], v[2:3], v[14:15]
	v_fma_f64 v[6:7], v[8:9], v[2:3], v[16:17]
	s_delay_alu instid0(VALU_DEP_4)
	v_fma_f64 v[2:3], v[8:9], v[2:3], v[18:19]
	ds_store_b128 v11, v[4:7] offset:7616
.LBB0_16:
	s_wait_alu 0xfffe
	s_and_not1_saveexec_b32 s0, s1
	s_cbranch_execz .LBB0_18
; %bb.17:
	ds_load_b128 v[4:7], v94 offset:3808
	s_wait_dscnt 0x0
	v_add_f64_e32 v[4:5], v[4:5], v[4:5]
	v_mul_f64_e32 v[6:7], -2.0, v[6:7]
	ds_store_b128 v94, v[4:7] offset:3808
.LBB0_18:
	s_wait_alu 0xfffe
	s_or_b32 exec_lo, exec_lo, s0
	v_mov_b32_e32 v71, 0
	s_add_nc_u64 s[0:1], s[8:9], 0x1cb0
	v_lshl_add_u32 v117, v70, 4, 0
	s_mov_b32 s33, exec_lo
	s_delay_alu instid0(VALU_DEP_2) | instskip(NEXT) | instid1(VALU_DEP_2)
	v_lshlrev_b64_e32 v[113:114], 4, v[70:71]
	v_lshl_add_u32 v93, v10, 4, v117
	s_wait_alu 0xfffe
	s_delay_alu instid0(VALU_DEP_2) | instskip(SKIP_1) | instid1(VALU_DEP_3)
	v_add_co_u32 v24, s0, s0, v113
	s_wait_alu 0xf1ff
	v_add_co_ci_u32_e64 v25, s0, s1, v114, s0
	s_clause 0x1
	global_load_b128 v[4:7], v[24:25], off offset:544
	global_load_b128 v[12:15], v[24:25], off offset:1088
	ds_store_b128 v92, v[0:3]
	ds_load_b128 v[0:3], v92 offset:544
	ds_load_b128 v[16:19], v11 offset:7072
	global_load_b128 v[20:23], v[24:25], off offset:1632
	s_wait_dscnt 0x0
	v_add_f64_e32 v[8:9], v[0:1], v[16:17]
	v_add_f64_e32 v[26:27], v[18:19], v[2:3]
	v_add_f64_e64 v[16:17], v[0:1], -v[16:17]
	v_add_f64_e64 v[0:1], v[2:3], -v[18:19]
	s_wait_loadcnt 0x2
	s_delay_alu instid0(VALU_DEP_2) | instskip(NEXT) | instid1(VALU_DEP_2)
	v_fma_f64 v[2:3], v[16:17], v[6:7], v[8:9]
	v_fma_f64 v[18:19], v[26:27], v[6:7], v[0:1]
	v_fma_f64 v[8:9], -v[16:17], v[6:7], v[8:9]
	v_fma_f64 v[28:29], v[26:27], v[6:7], -v[0:1]
	s_delay_alu instid0(VALU_DEP_4) | instskip(NEXT) | instid1(VALU_DEP_4)
	v_fma_f64 v[0:1], -v[26:27], v[4:5], v[2:3]
	v_fma_f64 v[2:3], v[16:17], v[4:5], v[18:19]
	s_delay_alu instid0(VALU_DEP_4) | instskip(NEXT) | instid1(VALU_DEP_4)
	v_fma_f64 v[6:7], v[26:27], v[4:5], v[8:9]
	v_fma_f64 v[8:9], v[16:17], v[4:5], v[28:29]
	ds_store_b128 v92, v[0:3] offset:544
	ds_store_b128 v11, v[6:9] offset:7072
	ds_load_b128 v[0:3], v92 offset:1088
	ds_load_b128 v[4:7], v11 offset:6528
	global_load_b128 v[16:19], v[24:25], off offset:2176
	s_wait_dscnt 0x0
	v_add_f64_e32 v[8:9], v[0:1], v[4:5]
	v_add_f64_e32 v[26:27], v[6:7], v[2:3]
	v_add_f64_e64 v[28:29], v[0:1], -v[4:5]
	v_add_f64_e64 v[0:1], v[2:3], -v[6:7]
	s_wait_loadcnt 0x2
	s_delay_alu instid0(VALU_DEP_2) | instskip(NEXT) | instid1(VALU_DEP_2)
	v_fma_f64 v[2:3], v[28:29], v[14:15], v[8:9]
	v_fma_f64 v[4:5], v[26:27], v[14:15], v[0:1]
	v_fma_f64 v[6:7], -v[28:29], v[14:15], v[8:9]
	v_fma_f64 v[8:9], v[26:27], v[14:15], -v[0:1]
	s_delay_alu instid0(VALU_DEP_4) | instskip(NEXT) | instid1(VALU_DEP_4)
	v_fma_f64 v[0:1], -v[26:27], v[12:13], v[2:3]
	v_fma_f64 v[2:3], v[28:29], v[12:13], v[4:5]
	s_delay_alu instid0(VALU_DEP_4) | instskip(NEXT) | instid1(VALU_DEP_4)
	v_fma_f64 v[4:5], v[26:27], v[12:13], v[6:7]
	v_fma_f64 v[6:7], v[28:29], v[12:13], v[8:9]
	ds_store_b128 v92, v[0:3] offset:1088
	ds_store_b128 v11, v[4:7] offset:6528
	;; [unrolled: 22-line block ×4, first 2 shown]
	ds_load_b128 v[0:3], v92 offset:2720
	ds_load_b128 v[4:7], v11 offset:4896
	s_wait_dscnt 0x0
	v_add_f64_e32 v[8:9], v[0:1], v[4:5]
	v_add_f64_e32 v[16:17], v[6:7], v[2:3]
	v_add_f64_e64 v[18:19], v[0:1], -v[4:5]
	v_add_f64_e64 v[0:1], v[2:3], -v[6:7]
	s_wait_loadcnt 0x1
	s_delay_alu instid0(VALU_DEP_2) | instskip(NEXT) | instid1(VALU_DEP_2)
	v_fma_f64 v[2:3], v[18:19], v[14:15], v[8:9]
	v_fma_f64 v[4:5], v[16:17], v[14:15], v[0:1]
	v_fma_f64 v[6:7], -v[18:19], v[14:15], v[8:9]
	v_fma_f64 v[8:9], v[16:17], v[14:15], -v[0:1]
	s_delay_alu instid0(VALU_DEP_4) | instskip(NEXT) | instid1(VALU_DEP_4)
	v_fma_f64 v[0:1], -v[16:17], v[12:13], v[2:3]
	v_fma_f64 v[2:3], v[18:19], v[12:13], v[4:5]
	s_delay_alu instid0(VALU_DEP_4) | instskip(NEXT) | instid1(VALU_DEP_4)
	v_fma_f64 v[4:5], v[16:17], v[12:13], v[6:7]
	v_fma_f64 v[6:7], v[18:19], v[12:13], v[8:9]
	ds_store_b128 v92, v[0:3] offset:2720
	ds_store_b128 v11, v[4:7] offset:4896
	ds_load_b128 v[0:3], v92 offset:3264
	ds_load_b128 v[4:7], v11 offset:4352
	s_wait_dscnt 0x0
	v_add_f64_e32 v[8:9], v[0:1], v[4:5]
	v_add_f64_e32 v[12:13], v[6:7], v[2:3]
	v_add_f64_e64 v[14:15], v[0:1], -v[4:5]
	v_add_f64_e64 v[0:1], v[2:3], -v[6:7]
	s_wait_loadcnt 0x0
	s_delay_alu instid0(VALU_DEP_2) | instskip(NEXT) | instid1(VALU_DEP_2)
	v_fma_f64 v[2:3], v[14:15], v[22:23], v[8:9]
	v_fma_f64 v[4:5], v[12:13], v[22:23], v[0:1]
	v_fma_f64 v[6:7], -v[14:15], v[22:23], v[8:9]
	v_fma_f64 v[8:9], v[12:13], v[22:23], -v[0:1]
	s_delay_alu instid0(VALU_DEP_4) | instskip(NEXT) | instid1(VALU_DEP_4)
	v_fma_f64 v[0:1], -v[12:13], v[20:21], v[2:3]
	v_fma_f64 v[2:3], v[14:15], v[20:21], v[4:5]
	s_delay_alu instid0(VALU_DEP_4) | instskip(NEXT) | instid1(VALU_DEP_4)
	v_fma_f64 v[4:5], v[12:13], v[20:21], v[6:7]
	v_fma_f64 v[6:7], v[14:15], v[20:21], v[8:9]
	ds_store_b128 v92, v[0:3] offset:3264
	ds_store_b128 v11, v[4:7] offset:4352
	global_wb scope:SCOPE_SE
	s_wait_dscnt 0x0
	s_barrier_signal -1
	s_barrier_wait -1
	global_inv scope:SCOPE_SE
	global_wb scope:SCOPE_SE
	s_barrier_signal -1
	s_barrier_wait -1
	global_inv scope:SCOPE_SE
	ds_load_b128 v[0:3], v92
	ds_load_b128 v[8:11], v93 offset:448
	ds_load_b128 v[74:77], v93 offset:896
	;; [unrolled: 1-line block ×16, first 2 shown]
	global_wb scope:SCOPE_SE
	s_wait_dscnt 0x0
	s_barrier_signal -1
	s_barrier_wait -1
	global_inv scope:SCOPE_SE
	v_cmpx_gt_u32_e32 28, v70
	s_cbranch_execz .LBB0_20
; %bb.19:
	v_add_f64_e32 v[78:79], v[2:3], v[10:11]
	v_add_f64_e32 v[80:81], v[0:1], v[8:9]
	;; [unrolled: 1-line block ×3, first 2 shown]
	v_add_f64_e64 v[26:27], v[66:67], -v[62:63]
	v_add_f64_e32 v[90:91], v[58:59], v[54:55]
	v_add_f64_e64 v[169:170], v[58:59], -v[54:55]
	v_add_f64_e32 v[159:160], v[50:51], v[46:47]
	s_mov_b32 s18, 0x6c9a05f6
	s_mov_b32 s26, 0x75d4884
	;; [unrolled: 1-line block ×6, first 2 shown]
	v_add_f64_e64 v[151:152], v[64:65], -v[60:61]
	v_add_f64_e32 v[149:150], v[64:65], v[60:61]
	s_mov_b32 s14, 0x3259b75e
	s_mov_b32 s10, 0xc61f0d01
	;; [unrolled: 1-line block ×23, first 2 shown]
	v_add_f64_e32 v[78:79], v[78:79], v[76:77]
	v_add_f64_e32 v[80:81], v[80:81], v[74:75]
	s_mov_b32 s22, 0xacd6c6b4
	s_mov_b32 s55, 0xbfefdd0d
	;; [unrolled: 1-line block ×15, first 2 shown]
	s_wait_alu 0xfffe
	s_mov_b32 s36, s28
	s_mov_b32 s44, s24
	;; [unrolled: 1-line block ×4, first 2 shown]
	s_clause 0x1
	scratch_store_b64 off, v[115:116], off
	scratch_store_b32 off, v94, off offset:8
	v_mov_b32_e32 v94, v117
	v_mul_f64_e32 v[167:168], s[34:35], v[26:27]
	v_mul_f64_e32 v[165:166], s[14:15], v[24:25]
	;; [unrolled: 1-line block ×12, first 2 shown]
	v_add_f64_e32 v[78:79], v[78:79], v[18:19]
	v_add_f64_e32 v[80:81], v[80:81], v[16:17]
	s_delay_alu instid0(VALU_DEP_2) | instskip(NEXT) | instid1(VALU_DEP_2)
	v_add_f64_e32 v[78:79], v[78:79], v[34:35]
	v_add_f64_e32 v[80:81], v[80:81], v[32:33]
	s_delay_alu instid0(VALU_DEP_2) | instskip(NEXT) | instid1(VALU_DEP_2)
	;; [unrolled: 3-line block ×4, first 2 shown]
	v_add_f64_e32 v[78:79], v[78:79], v[58:59]
	v_add_f64_e32 v[80:81], v[80:81], v[56:57]
	v_add_f64_e64 v[58:59], v[42:43], -v[38:39]
	s_delay_alu instid0(VALU_DEP_3) | instskip(NEXT) | instid1(VALU_DEP_3)
	v_add_f64_e32 v[82:83], v[78:79], v[66:67]
	v_add_f64_e32 v[84:85], v[80:81], v[64:65]
	v_add_f64_e64 v[66:67], v[50:51], -v[46:47]
	v_add_f64_e64 v[50:51], v[34:35], -v[30:31]
	v_add_f64_e32 v[64:65], v[48:49], v[44:45]
	v_add_f64_e64 v[78:79], v[56:57], -v[52:53]
	v_add_f64_e32 v[80:81], v[56:57], v[52:53]
	v_add_f64_e32 v[56:57], v[40:41], v[36:37]
	v_mul_f64_e32 v[187:188], s[42:43], v[58:59]
	v_mul_f64_e32 v[215:216], s[24:25], v[58:59]
	v_mul_f64_e32 v[243:244], s[40:41], v[58:59]
	v_add_f64_e32 v[82:83], v[82:83], v[62:63]
	v_add_f64_e32 v[84:85], v[84:85], v[60:61]
	;; [unrolled: 1-line block ×3, first 2 shown]
	v_add_f64_e64 v[60:61], v[48:49], -v[44:45]
	v_add_f64_e32 v[48:49], v[32:33], v[28:29]
	v_add_f64_e64 v[42:43], v[18:19], -v[22:23]
	v_mul_f64_e32 v[183:184], s[54:55], v[50:51]
	v_mul_f64_e32 v[191:192], s[52:53], v[66:67]
	v_mul_f64_e32 v[211:212], s[50:51], v[50:51]
	v_mul_f64_e32 v[219:220], s[16:17], v[66:67]
	v_mul_f64_e32 v[239:240], s[16:17], v[50:51]
	v_mul_f64_e32 v[247:248], s[38:39], v[66:67]
	v_add_f64_e32 v[82:83], v[82:83], v[54:55]
	v_add_f64_e32 v[84:85], v[84:85], v[52:53]
	;; [unrolled: 1-line block ×3, first 2 shown]
	v_add_f64_e64 v[34:35], v[76:77], -v[14:15]
	v_add_f64_e64 v[52:53], v[40:41], -v[36:37]
	v_add_f64_e32 v[40:41], v[16:17], v[20:21]
	v_mul_f64_e32 v[179:180], s[28:29], v[42:43]
	v_mul_f64_e32 v[185:186], s[10:11], v[62:63]
	;; [unrolled: 1-line block ×6, first 2 shown]
	v_add_f64_e32 v[82:83], v[82:83], v[46:47]
	v_add_f64_e32 v[84:85], v[84:85], v[44:45]
	v_add_f64_e64 v[44:45], v[32:33], -v[28:29]
	v_add_f64_e64 v[32:33], v[74:75], -v[12:13]
	v_add_f64_e32 v[46:47], v[18:19], v[22:23]
	v_mul_f64_e32 v[175:176], s[46:47], v[34:35]
	v_mul_f64_e32 v[181:182], s[14:15], v[54:55]
	;; [unrolled: 1-line block ×7, first 2 shown]
	v_add_f64_e32 v[82:83], v[82:83], v[38:39]
	v_add_f64_e32 v[84:85], v[84:85], v[36:37]
	;; [unrolled: 1-line block ×3, first 2 shown]
	v_add_f64_e64 v[36:37], v[16:17], -v[20:21]
	v_mul_f64_e32 v[177:178], s[20:21], v[46:47]
	v_mul_f64_e32 v[205:206], s[12:13], v[46:47]
	;; [unrolled: 1-line block ×4, first 2 shown]
	v_add_f64_e32 v[82:83], v[82:83], v[30:31]
	v_add_f64_e32 v[84:85], v[84:85], v[28:29]
	;; [unrolled: 1-line block ×3, first 2 shown]
	v_mul_f64_e32 v[173:174], s[26:27], v[38:39]
	v_mul_f64_e32 v[201:202], s[14:15], v[38:39]
	;; [unrolled: 1-line block ×5, first 2 shown]
	v_add_f64_e32 v[82:83], v[82:83], v[22:23]
	v_add_f64_e32 v[84:85], v[84:85], v[20:21]
	v_mul_f64_e32 v[22:23], s[48:49], v[50:51]
	v_mul_f64_e32 v[20:21], s[20:21], v[62:63]
	s_delay_alu instid0(VALU_DEP_4)
	v_add_f64_e32 v[14:15], v[82:83], v[14:15]
	v_add_f64_e32 v[82:83], v[10:11], v[6:7]
	v_add_f64_e64 v[10:11], v[10:11], -v[6:7]
	v_add_f64_e32 v[12:13], v[84:85], v[12:13]
	v_add_f64_e64 v[84:85], v[8:9], -v[4:5]
	v_add_f64_e32 v[8:9], v[8:9], v[4:5]
	v_add_f64_e32 v[6:7], v[14:15], v[6:7]
	v_mul_f64_e32 v[99:100], s[26:27], v[82:83]
	v_mul_f64_e32 v[119:120], s[52:53], v[10:11]
	v_add_f64_e32 v[4:5], v[12:13], v[4:5]
	v_mul_f64_e32 v[12:13], s[0:1], v[82:83]
	v_mul_f64_e32 v[14:15], s[4:5], v[82:83]
	;; [unrolled: 1-line block ×11, first 2 shown]
	v_fma_f64 v[113:114], v[84:85], s[40:41], v[99:100]
	v_fma_f64 v[133:134], v[8:9], s[12:13], v[119:120]
	v_fma_f64 v[119:120], v[8:9], s[12:13], -v[119:120]
	scratch_store_b128 off, v[4:7], off offset:12 ; 16-byte Folded Spill
	v_fma_f64 v[101:102], v[84:85], s[22:23], v[12:13]
	v_fma_f64 v[12:13], v[84:85], s[50:51], v[12:13]
	;; [unrolled: 1-line block ×15, first 2 shown]
	v_mul_f64_e32 v[82:83], s[50:51], v[10:11]
	v_mul_f64_e32 v[84:85], s[44:45], v[10:11]
	;; [unrolled: 1-line block ×3, first 2 shown]
	v_fma_f64 v[141:142], v[8:9], s[26:27], v[127:128]
	v_fma_f64 v[135:136], v[8:9], s[10:11], v[121:122]
	v_fma_f64 v[121:122], v[8:9], s[10:11], -v[121:122]
	v_fma_f64 v[137:138], v[8:9], s[14:15], v[123:124]
	v_fma_f64 v[123:124], v[8:9], s[14:15], -v[123:124]
	;; [unrolled: 2-line block ×3, first 2 shown]
	v_fma_f64 v[127:128], v[8:9], s[26:27], -v[127:128]
	v_add_f64_e32 v[6:7], v[2:3], v[113:114]
	v_add_f64_e32 v[133:134], v[0:1], v[133:134]
	;; [unrolled: 1-line block ×6, first 2 shown]
	v_mul_f64_e32 v[14:15], s[4:5], v[46:47]
	v_add_f64_e32 v[105:106], v[2:3], v[105:106]
	v_add_f64_e32 v[86:87], v[2:3], v[86:87]
	;; [unrolled: 1-line block ×6, first 2 shown]
	v_fma_f64 v[129:130], v[8:9], s[0:1], v[82:83]
	v_fma_f64 v[82:83], v[8:9], s[0:1], -v[82:83]
	v_fma_f64 v[131:132], v[8:9], s[4:5], v[84:85]
	v_fma_f64 v[84:85], v[8:9], s[4:5], -v[84:85]
	;; [unrolled: 2-line block ×3, first 2 shown]
	v_add_f64_e32 v[10:11], v[2:3], v[101:102]
	v_add_f64_e32 v[135:136], v[0:1], v[135:136]
	;; [unrolled: 1-line block ×7, first 2 shown]
	scratch_store_b64 off, v[6:7], off offset:68 ; 8-byte Folded Spill
	v_add_f64_e32 v[6:7], v[0:1], v[141:142]
	scratch_store_b64 off, v[4:5], off offset:92 ; 8-byte Folded Spill
	v_add_f64_e32 v[4:5], v[2:3], v[107:108]
	v_add_f64_e32 v[107:108], v[2:3], v[99:100]
	v_fma_f64 v[95:96], v[36:37], s[24:25], v[14:15]
	v_add_f64_e32 v[101:102], v[0:1], v[129:130]
	v_add_f64_e32 v[129:130], v[0:1], v[82:83]
	;; [unrolled: 1-line block ×4, first 2 shown]
	scratch_store_b64 off, v[6:7], off offset:60 ; 8-byte Folded Spill
	v_add_f64_e32 v[6:7], v[2:3], v[115:116]
	scratch_store_b64 off, v[4:5], off offset:84 ; 8-byte Folded Spill
	v_add_f64_e32 v[4:5], v[2:3], v[111:112]
	v_add_f64_e32 v[115:116], v[0:1], v[8:9]
	v_mul_f64_e32 v[8:9], s[30:31], v[38:39]
	v_add_f64_e32 v[111:112], v[2:3], v[97:98]
	scratch_store_b64 off, v[6:7], off offset:52 ; 8-byte Folded Spill
	v_add_f64_e32 v[6:7], v[0:1], v[143:144]
	scratch_store_b64 off, v[4:5], off offset:76 ; 8-byte Folded Spill
	v_add_f64_e32 v[4:5], v[0:1], v[125:126]
	v_fma_f64 v[0:1], v[32:33], s[38:39], v[8:9]
	v_fma_f64 v[8:9], v[32:33], s[48:49], v[8:9]
	v_dual_mov_b32 v125, v169 :: v_dual_mov_b32 v126, v170
	s_delay_alu instid0(VALU_DEP_3) | instskip(SKIP_1) | instid1(VALU_DEP_4)
	v_add_f64_e32 v[0:1], v[0:1], v[10:11]
	v_mul_f64_e32 v[10:11], s[48:49], v[34:35]
	v_add_f64_e32 v[8:9], v[8:9], v[12:13]
	v_fma_f64 v[12:13], v[36:37], s[44:45], v[14:15]
	v_fma_f64 v[14:15], v[149:150], s[14:15], -v[167:168]
	v_add_f64_e32 v[0:1], v[95:96], v[0:1]
	v_fma_f64 v[2:3], v[30:31], s[30:31], v[10:11]
	v_mul_f64_e32 v[95:96], s[44:45], v[42:43]
	v_fma_f64 v[10:11], v[30:31], s[30:31], -v[10:11]
	v_add_f64_e32 v[8:9], v[12:13], v[8:9]
	s_delay_alu instid0(VALU_DEP_4) | instskip(NEXT) | instid1(VALU_DEP_4)
	v_add_f64_e32 v[2:3], v[2:3], v[101:102]
	v_fma_f64 v[97:98], v[40:41], s[4:5], v[95:96]
	s_delay_alu instid0(VALU_DEP_4) | instskip(SKIP_2) | instid1(VALU_DEP_4)
	v_add_f64_e32 v[10:11], v[10:11], v[129:130]
	v_fma_f64 v[12:13], v[40:41], s[4:5], -v[95:96]
	v_mul_f64_e32 v[95:96], s[20:21], v[38:39]
	v_add_f64_e32 v[2:3], v[97:98], v[2:3]
	v_mul_f64_e32 v[97:98], s[26:27], v[54:55]
	s_delay_alu instid0(VALU_DEP_4) | instskip(NEXT) | instid1(VALU_DEP_2)
	v_add_f64_e32 v[10:11], v[12:13], v[10:11]
	v_fma_f64 v[99:100], v[44:45], s[46:47], v[97:98]
	v_fma_f64 v[12:13], v[44:45], s[40:41], v[97:98]
	v_mul_f64_e32 v[97:98], s[36:37], v[34:35]
	s_delay_alu instid0(VALU_DEP_3) | instskip(SKIP_1) | instid1(VALU_DEP_4)
	v_add_f64_e32 v[0:1], v[99:100], v[0:1]
	v_mul_f64_e32 v[99:100], s[40:41], v[50:51]
	v_add_f64_e32 v[8:9], v[12:13], v[8:9]
	s_delay_alu instid0(VALU_DEP_2) | instskip(SKIP_2) | instid1(VALU_DEP_3)
	v_fma_f64 v[101:102], v[48:49], s[26:27], v[99:100]
	v_fma_f64 v[12:13], v[48:49], s[26:27], -v[99:100]
	v_mul_f64_e32 v[99:100], s[14:15], v[46:47]
	v_add_f64_e32 v[2:3], v[101:102], v[2:3]
	v_mul_f64_e32 v[101:102], s[12:13], v[62:63]
	s_delay_alu instid0(VALU_DEP_4) | instskip(NEXT) | instid1(VALU_DEP_2)
	v_add_f64_e32 v[10:11], v[12:13], v[10:11]
	v_fma_f64 v[117:118], v[52:53], s[18:19], v[101:102]
	v_fma_f64 v[12:13], v[52:53], s[52:53], v[101:102]
	;; [unrolled: 1-line block ×4, first 2 shown]
	s_delay_alu instid0(VALU_DEP_4) | instskip(SKIP_2) | instid1(VALU_DEP_2)
	v_add_f64_e32 v[0:1], v[117:118], v[0:1]
	v_mul_f64_e32 v[117:118], s[52:53], v[58:59]
	v_add_f64_e32 v[8:9], v[12:13], v[8:9]
	v_fma_f64 v[127:128], v[56:57], s[12:13], v[117:118]
	v_fma_f64 v[12:13], v[56:57], s[12:13], -v[117:118]
	s_delay_alu instid0(VALU_DEP_2) | instskip(SKIP_1) | instid1(VALU_DEP_3)
	v_add_f64_e32 v[2:3], v[127:128], v[2:3]
	v_mul_f64_e32 v[127:128], s[20:21], v[159:160]
	v_add_f64_e32 v[10:11], v[12:13], v[10:11]
	s_delay_alu instid0(VALU_DEP_2) | instskip(SKIP_1) | instid1(VALU_DEP_2)
	v_fma_f64 v[141:142], v[60:61], s[28:29], v[127:128]
	v_fma_f64 v[12:13], v[60:61], s[36:37], v[127:128]
	v_add_f64_e32 v[0:1], v[141:142], v[0:1]
	v_mul_f64_e32 v[141:142], s[36:37], v[66:67]
	s_delay_alu instid0(VALU_DEP_3) | instskip(NEXT) | instid1(VALU_DEP_2)
	v_add_f64_e32 v[8:9], v[12:13], v[8:9]
	v_fma_f64 v[143:144], v[64:65], s[20:21], v[141:142]
	v_fma_f64 v[12:13], v[64:65], s[20:21], -v[141:142]
	s_delay_alu instid0(VALU_DEP_2) | instskip(SKIP_1) | instid1(VALU_DEP_3)
	v_add_f64_e32 v[2:3], v[143:144], v[2:3]
	v_mul_f64_e32 v[143:144], s[10:11], v[90:91]
	v_add_f64_e32 v[10:11], v[12:13], v[10:11]
	s_delay_alu instid0(VALU_DEP_2) | instskip(SKIP_1) | instid1(VALU_DEP_2)
	v_fma_f64 v[161:162], v[78:79], s[16:17], v[143:144]
	v_fma_f64 v[12:13], v[78:79], s[42:43], v[143:144]
	v_add_f64_e32 v[0:1], v[161:162], v[0:1]
	v_mul_f64_e32 v[161:162], s[42:43], v[169:170]
	s_delay_alu instid0(VALU_DEP_3) | instskip(NEXT) | instid1(VALU_DEP_2)
	v_add_f64_e32 v[8:9], v[12:13], v[8:9]
	v_fma_f64 v[12:13], v[80:81], s[10:11], -v[161:162]
	v_fma_f64 v[163:164], v[80:81], s[10:11], v[161:162]
	s_delay_alu instid0(VALU_DEP_2) | instskip(NEXT) | instid1(VALU_DEP_2)
	v_add_f64_e32 v[12:13], v[12:13], v[10:11]
	v_add_f64_e32 v[163:164], v[163:164], v[2:3]
	v_fma_f64 v[2:3], v[151:152], s[54:55], v[165:166]
	v_fma_f64 v[10:11], v[151:152], s[34:35], v[165:166]
	v_mul_f64_e32 v[165:166], s[10:11], v[24:25]
	v_add_f64_e32 v[153:154], v[14:15], v[12:13]
	v_fma_f64 v[12:13], v[32:33], s[28:29], v[95:96]
	v_fma_f64 v[14:15], v[30:31], s[20:21], v[97:98]
	;; [unrolled: 1-line block ×3, first 2 shown]
	v_fma_f64 v[97:98], v[30:31], s[20:21], -v[97:98]
	v_add_f64_e32 v[2:3], v[2:3], v[0:1]
	v_fma_f64 v[0:1], v[149:150], s[14:15], v[167:168]
	v_mul_f64_e32 v[167:168], s[42:43], v[26:27]
	v_add_f64_e32 v[155:156], v[10:11], v[8:9]
	v_fma_f64 v[10:11], v[56:57], s[20:21], -v[18:19]
	v_mul_f64_e32 v[8:9], s[12:13], v[90:91]
	v_add_f64_e32 v[12:13], v[12:13], v[103:104]
	v_add_f64_e32 v[14:15], v[14:15], v[131:132]
	;; [unrolled: 1-line block ×4, first 2 shown]
	v_mul_f64_e32 v[145:146], s[14:15], v[62:63]
	v_add_f64_e32 v[0:1], v[0:1], v[163:164]
	v_mul_f64_e32 v[147:148], s[34:35], v[58:59]
	scratch_store_b64 off, v[6:7], off offset:44 ; 8-byte Folded Spill
	v_add_f64_e32 v[12:13], v[101:102], v[12:13]
	v_mul_f64_e32 v[101:102], s[54:55], v[42:43]
	v_add_f64_e32 v[95:96], v[99:100], v[95:96]
	scratch_store_b128 off, v[0:3], off offset:28 ; 16-byte Folded Spill
	v_dual_mov_b32 v0, v24 :: v_dual_mov_b32 v1, v25
	v_mul_f64_e32 v[195:196], s[44:45], v[125:126]
	v_mul_f64_e32 v[223:224], s[36:37], v[125:126]
	v_dual_mov_b32 v2, v26 :: v_dual_mov_b32 v3, v27
	s_delay_alu instid0(VALU_DEP_4)
	v_mul_f64_e32 v[225:226], s[30:31], v[0:1]
	v_mul_f64_e32 v[251:252], s[54:55], v[125:126]
	;; [unrolled: 1-line block ×6, first 2 shown]
	v_fma_f64 v[103:104], v[40:41], s[14:15], v[101:102]
	v_fma_f64 v[99:100], v[40:41], s[14:15], -v[101:102]
	v_fma_f64 v[101:102], v[149:150], s[10:11], -v[167:168]
	s_delay_alu instid0(VALU_DEP_3) | instskip(SKIP_1) | instid1(VALU_DEP_4)
	v_add_f64_e32 v[14:15], v[103:104], v[14:15]
	v_mul_f64_e32 v[103:104], s[12:13], v[54:55]
	v_add_f64_e32 v[97:98], v[99:100], v[97:98]
	s_delay_alu instid0(VALU_DEP_2) | instskip(SKIP_1) | instid1(VALU_DEP_2)
	v_fma_f64 v[117:118], v[44:45], s[52:53], v[103:104]
	v_fma_f64 v[99:100], v[44:45], s[18:19], v[103:104]
	v_add_f64_e32 v[12:13], v[117:118], v[12:13]
	v_mul_f64_e32 v[117:118], s[18:19], v[50:51]
	s_delay_alu instid0(VALU_DEP_3) | instskip(NEXT) | instid1(VALU_DEP_2)
	v_add_f64_e32 v[95:96], v[99:100], v[95:96]
	v_fma_f64 v[127:128], v[48:49], s[12:13], v[117:118]
	v_fma_f64 v[99:100], v[48:49], s[12:13], -v[117:118]
	s_delay_alu instid0(VALU_DEP_2) | instskip(SKIP_1) | instid1(VALU_DEP_3)
	v_add_f64_e32 v[14:15], v[127:128], v[14:15]
	v_mul_f64_e32 v[127:128], s[30:31], v[62:63]
	v_add_f64_e32 v[97:98], v[99:100], v[97:98]
	v_mul_f64_e32 v[62:63], s[0:1], v[62:63]
	s_delay_alu instid0(VALU_DEP_3) | instskip(SKIP_2) | instid1(VALU_DEP_3)
	v_fma_f64 v[129:130], v[52:53], s[48:49], v[127:128]
	v_fma_f64 v[99:100], v[52:53], s[38:39], v[127:128]
	v_mul_f64_e32 v[127:128], s[10:11], v[38:39]
	v_add_f64_e32 v[12:13], v[129:130], v[12:13]
	v_mul_f64_e32 v[129:130], s[38:39], v[58:59]
	s_delay_alu instid0(VALU_DEP_4) | instskip(SKIP_1) | instid1(VALU_DEP_3)
	v_add_f64_e32 v[95:96], v[99:100], v[95:96]
	v_mul_f64_e32 v[58:59], s[50:51], v[58:59]
	v_fma_f64 v[131:132], v[56:57], s[30:31], v[129:130]
	v_fma_f64 v[99:100], v[56:57], s[30:31], -v[129:130]
	v_mul_f64_e32 v[129:130], s[16:17], v[34:35]
	s_delay_alu instid0(VALU_DEP_3) | instskip(SKIP_1) | instid1(VALU_DEP_4)
	v_add_f64_e32 v[14:15], v[131:132], v[14:15]
	v_mul_f64_e32 v[131:132], s[0:1], v[159:160]
	v_add_f64_e32 v[97:98], v[99:100], v[97:98]
	s_delay_alu instid0(VALU_DEP_2) | instskip(SKIP_3) | instid1(VALU_DEP_4)
	v_fma_f64 v[141:142], v[60:61], s[22:23], v[131:132]
	v_fma_f64 v[99:100], v[60:61], s[50:51], v[131:132]
	v_mul_f64_e32 v[131:132], s[30:31], v[46:47]
	v_mul_f64_e32 v[46:47], s[26:27], v[46:47]
	v_add_f64_e32 v[12:13], v[141:142], v[12:13]
	v_mul_f64_e32 v[141:142], s[50:51], v[66:67]
	v_add_f64_e32 v[95:96], v[99:100], v[95:96]
	v_fma_f64 v[103:104], v[36:37], s[48:49], v[131:132]
	s_delay_alu instid0(VALU_DEP_3) | instskip(SKIP_2) | instid1(VALU_DEP_3)
	v_fma_f64 v[143:144], v[64:65], s[0:1], v[141:142]
	v_fma_f64 v[99:100], v[64:65], s[0:1], -v[141:142]
	v_mul_f64_e32 v[141:142], s[4:5], v[54:55]
	v_add_f64_e32 v[14:15], v[143:144], v[14:15]
	v_mul_f64_e32 v[143:144], s[26:27], v[90:91]
	s_delay_alu instid0(VALU_DEP_4) | instskip(NEXT) | instid1(VALU_DEP_2)
	v_add_f64_e32 v[97:98], v[99:100], v[97:98]
	v_fma_f64 v[161:162], v[78:79], s[46:47], v[143:144]
	v_fma_f64 v[99:100], v[78:79], s[40:41], v[143:144]
	v_mul_f64_e32 v[143:144], s[44:45], v[50:51]
	v_mul_f64_e32 v[50:51], s[28:29], v[50:51]
	s_delay_alu instid0(VALU_DEP_4)
	v_add_f64_e32 v[12:13], v[161:162], v[12:13]
	v_mul_f64_e32 v[161:162], s[40:41], v[169:170]
	v_add_f64_e32 v[95:96], v[99:100], v[95:96]
	v_mul_f64_e32 v[169:170], s[20:21], v[24:25]
	v_mul_f64_e32 v[24:25], s[30:31], v[54:55]
	;; [unrolled: 1-line block ×3, first 2 shown]
	v_fma_f64 v[99:100], v[80:81], s[26:27], -v[161:162]
	v_fma_f64 v[163:164], v[80:81], s[26:27], v[161:162]
	v_mul_f64_e32 v[161:162], s[26:27], v[159:160]
	v_mul_f64_e32 v[159:160], s[14:15], v[159:160]
	s_delay_alu instid0(VALU_DEP_4) | instskip(SKIP_4) | instid1(VALU_DEP_4)
	v_add_f64_e32 v[99:100], v[99:100], v[97:98]
	v_fma_f64 v[97:98], v[151:152], s[42:43], v[165:166]
	v_add_f64_e32 v[163:164], v[163:164], v[14:15]
	v_fma_f64 v[14:15], v[151:152], s[16:17], v[165:166]
	v_mul_f64_e32 v[165:166], s[0:1], v[90:91]
	v_add_f64_e32 v[97:98], v[97:98], v[95:96]
	v_add_f64_e32 v[95:96], v[101:102], v[99:100]
	v_fma_f64 v[99:100], v[32:33], s[42:43], v[127:128]
	v_fma_f64 v[101:102], v[30:31], s[10:11], v[129:130]
	v_add_f64_e32 v[84:85], v[14:15], v[12:13]
	v_fma_f64 v[12:13], v[149:150], s[10:11], v[167:168]
	v_mul_f64_e32 v[167:168], s[50:51], v[125:126]
	v_fma_f64 v[14:15], v[60:61], s[44:45], v[16:17]
	v_mul_f64_e32 v[125:126], s[38:39], v[125:126]
	v_add_f64_e32 v[99:100], v[99:100], v[105:106]
	v_add_f64_e32 v[101:102], v[101:102], v[133:134]
	v_mul_f64_e32 v[133:134], s[38:39], v[42:43]
	v_add_f64_e32 v[82:83], v[12:13], v[163:164]
	v_mul_f64_e32 v[163:164], s[46:47], v[66:67]
	v_fma_f64 v[105:106], v[30:31], s[26:27], -v[175:176]
	v_mul_f64_e32 v[12:13], s[44:45], v[66:67]
	v_mul_f64_e32 v[42:43], s[40:41], v[42:43]
	;; [unrolled: 1-line block ×3, first 2 shown]
	v_add_f64_e32 v[99:100], v[103:104], v[99:100]
	v_fma_f64 v[103:104], v[40:41], s[30:31], v[133:134]
	v_add_f64_e32 v[105:106], v[105:106], v[115:116]
	v_fma_f64 v[115:116], v[36:37], s[22:23], v[233:234]
	s_delay_alu instid0(VALU_DEP_3) | instskip(SKIP_1) | instid1(VALU_DEP_1)
	v_add_f64_e32 v[101:102], v[103:104], v[101:102]
	v_fma_f64 v[103:104], v[44:45], s[24:25], v[141:142]
	v_add_f64_e32 v[99:100], v[103:104], v[99:100]
	v_fma_f64 v[103:104], v[48:49], s[4:5], v[143:144]
	s_delay_alu instid0(VALU_DEP_1) | instskip(SKIP_1) | instid1(VALU_DEP_1)
	v_add_f64_e32 v[101:102], v[103:104], v[101:102]
	v_fma_f64 v[103:104], v[52:53], s[54:55], v[145:146]
	v_add_f64_e32 v[99:100], v[103:104], v[99:100]
	v_fma_f64 v[103:104], v[56:57], s[14:15], v[147:148]
	s_delay_alu instid0(VALU_DEP_1) | instskip(SKIP_1) | instid1(VALU_DEP_1)
	;; [unrolled: 5-line block ×6, first 2 shown]
	v_add_f64_e32 v[103:104], v[113:114], v[103:104]
	v_fma_f64 v[113:114], v[40:41], s[20:21], -v[179:180]
	v_add_f64_e32 v[105:106], v[113:114], v[105:106]
	v_fma_f64 v[113:114], v[44:45], s[54:55], v[181:182]
	s_delay_alu instid0(VALU_DEP_1) | instskip(SKIP_1) | instid1(VALU_DEP_1)
	v_add_f64_e32 v[103:104], v[113:114], v[103:104]
	v_fma_f64 v[113:114], v[48:49], s[14:15], -v[183:184]
	v_add_f64_e32 v[105:106], v[113:114], v[105:106]
	v_fma_f64 v[113:114], v[52:53], s[42:43], v[185:186]
	s_delay_alu instid0(VALU_DEP_1) | instskip(SKIP_1) | instid1(VALU_DEP_1)
	;; [unrolled: 5-line block ×12, first 2 shown]
	v_add_f64_e32 v[109:110], v[109:110], v[107:108]
	v_fma_f64 v[107:108], v[149:150], s[30:31], -v[227:228]
	v_add_f64_e32 v[107:108], v[107:108], v[113:114]
	v_fma_f64 v[113:114], v[32:33], s[52:53], v[229:230]
	s_delay_alu instid0(VALU_DEP_1) | instskip(SKIP_1) | instid1(VALU_DEP_2)
	v_add_f64_e32 v[111:112], v[113:114], v[111:112]
	v_fma_f64 v[113:114], v[30:31], s[12:13], -v[231:232]
	v_add_f64_e32 v[111:112], v[115:116], v[111:112]
	s_delay_alu instid0(VALU_DEP_2) | instskip(SKIP_3) | instid1(VALU_DEP_3)
	v_add_f64_e32 v[113:114], v[113:114], v[4:5]
	v_fma_f64 v[115:116], v[40:41], s[0:1], -v[235:236]
	v_mul_f64_e32 v[4:5], s[26:27], v[0:1]
	v_mul_f64_e32 v[0:1], s[12:13], v[0:1]
	v_add_f64_e32 v[113:114], v[115:116], v[113:114]
	v_fma_f64 v[115:116], v[44:45], s[16:17], v[237:238]
	s_delay_alu instid0(VALU_DEP_1) | instskip(SKIP_1) | instid1(VALU_DEP_1)
	v_add_f64_e32 v[111:112], v[115:116], v[111:112]
	v_fma_f64 v[115:116], v[48:49], s[10:11], -v[239:240]
	v_add_f64_e32 v[113:114], v[115:116], v[113:114]
	v_fma_f64 v[115:116], v[52:53], s[40:41], v[241:242]
	s_delay_alu instid0(VALU_DEP_1) | instskip(SKIP_1) | instid1(VALU_DEP_1)
	v_add_f64_e32 v[111:112], v[115:116], v[111:112]
	v_fma_f64 v[115:116], v[56:57], s[26:27], -v[243:244]
	;; [unrolled: 5-line block ×5, first 2 shown]
	v_add_f64_e32 v[111:112], v[111:112], v[115:116]
	v_fma_f64 v[115:116], v[32:33], s[50:51], v[76:77]
	s_delay_alu instid0(VALU_DEP_1) | instskip(SKIP_2) | instid1(VALU_DEP_2)
	v_add_f64_e32 v[115:116], v[115:116], v[157:158]
	v_mul_f64_e32 v[157:158], s[50:51], v[34:35]
	v_mul_f64_e32 v[34:35], s[24:25], v[34:35]
	v_fma_f64 v[117:118], v[30:31], s[0:1], -v[157:158]
	s_delay_alu instid0(VALU_DEP_1) | instskip(SKIP_1) | instid1(VALU_DEP_1)
	v_add_f64_e32 v[117:118], v[117:118], v[123:124]
	v_fma_f64 v[123:124], v[36:37], s[16:17], v[28:29]
	v_add_f64_e32 v[115:116], v[123:124], v[115:116]
	v_fma_f64 v[123:124], v[40:41], s[10:11], -v[26:27]
	s_delay_alu instid0(VALU_DEP_1) | instskip(SKIP_1) | instid1(VALU_DEP_1)
	v_add_f64_e32 v[117:118], v[123:124], v[117:118]
	v_fma_f64 v[123:124], v[44:45], s[48:49], v[24:25]
	v_add_f64_e32 v[115:116], v[123:124], v[115:116]
	v_fma_f64 v[123:124], v[48:49], s[30:31], -v[22:23]
	s_delay_alu instid0(VALU_DEP_1) | instskip(SKIP_1) | instid1(VALU_DEP_2)
	v_add_f64_e32 v[117:118], v[123:124], v[117:118]
	v_fma_f64 v[123:124], v[52:53], s[28:29], v[20:21]
	v_add_f64_e32 v[10:11], v[10:11], v[117:118]
	s_delay_alu instid0(VALU_DEP_2) | instskip(SKIP_4) | instid1(VALU_DEP_1)
	v_add_f64_e32 v[115:116], v[123:124], v[115:116]
	v_mul_f64_e32 v[123:124], s[30:31], v[90:91]
	scratch_load_b64 v[90:91], off, off offset:92 th:TH_LOAD_LU ; 8-byte Folded Reload
	v_add_f64_e32 v[14:15], v[14:15], v[115:116]
	v_fma_f64 v[115:116], v[64:65], s[4:5], -v[12:13]
	v_add_f64_e32 v[10:11], v[115:116], v[10:11]
	v_fma_f64 v[115:116], v[78:79], s[18:19], v[8:9]
	v_fma_f64 v[8:9], v[78:79], s[52:53], v[8:9]
	s_delay_alu instid0(VALU_DEP_2) | instskip(SKIP_2) | instid1(VALU_DEP_2)
	v_add_f64_e32 v[14:15], v[115:116], v[14:15]
	v_fma_f64 v[115:116], v[80:81], s[12:13], -v[6:7]
	v_fma_f64 v[6:7], v[80:81], s[12:13], v[6:7]
	v_add_f64_e32 v[10:11], v[115:116], v[10:11]
	v_fma_f64 v[115:116], v[151:152], s[40:41], v[4:5]
	v_fma_f64 v[4:5], v[151:152], s[46:47], v[4:5]
	s_delay_alu instid0(VALU_DEP_2) | instskip(SKIP_2) | instid1(VALU_DEP_2)
	v_add_f64_e32 v[117:118], v[115:116], v[14:15]
	v_mul_f64_e32 v[14:15], s[40:41], v[2:3]
	v_mul_f64_e32 v[2:3], s[52:53], v[2:3]
	v_fma_f64 v[115:116], v[149:150], s[26:27], -v[14:15]
	s_delay_alu instid0(VALU_DEP_1) | instskip(SKIP_1) | instid1(VALU_DEP_1)
	v_add_f64_e32 v[115:116], v[115:116], v[10:11]
	v_mul_f64_e32 v[10:11], s[4:5], v[38:39]
	v_fma_f64 v[38:39], v[32:33], s[24:25], v[10:11]
	v_fma_f64 v[10:11], v[32:33], s[44:45], v[10:11]
	s_delay_alu instid0(VALU_DEP_2) | instskip(SKIP_2) | instid1(VALU_DEP_2)
	v_add_f64_e32 v[38:39], v[38:39], v[119:120]
	v_fma_f64 v[119:120], v[30:31], s[4:5], -v[34:35]
	v_fma_f64 v[34:35], v[30:31], s[4:5], v[34:35]
	v_add_f64_e32 v[119:120], v[119:120], v[121:122]
	v_fma_f64 v[121:122], v[36:37], s[40:41], v[46:47]
	s_delay_alu instid0(VALU_DEP_3) | instskip(NEXT) | instid1(VALU_DEP_2)
	v_add_f64_e32 v[34:35], v[34:35], v[135:136]
	v_add_f64_e32 v[38:39], v[121:122], v[38:39]
	v_fma_f64 v[121:122], v[40:41], s[26:27], -v[42:43]
	s_delay_alu instid0(VALU_DEP_1) | instskip(SKIP_1) | instid1(VALU_DEP_1)
	v_add_f64_e32 v[119:120], v[121:122], v[119:120]
	v_fma_f64 v[121:122], v[44:45], s[28:29], v[54:55]
	v_add_f64_e32 v[38:39], v[121:122], v[38:39]
	v_fma_f64 v[121:122], v[48:49], s[20:21], -v[50:51]
	s_delay_alu instid0(VALU_DEP_1) | instskip(SKIP_1) | instid1(VALU_DEP_1)
	v_add_f64_e32 v[119:120], v[121:122], v[119:120]
	v_fma_f64 v[121:122], v[52:53], s[50:51], v[62:63]
	;; [unrolled: 5-line block ×4, first 2 shown]
	v_add_f64_e32 v[38:39], v[121:122], v[38:39]
	v_fma_f64 v[121:122], v[80:81], s[30:31], -v[125:126]
	s_delay_alu instid0(VALU_DEP_1) | instskip(SKIP_2) | instid1(VALU_DEP_2)
	v_add_f64_e32 v[119:120], v[121:122], v[119:120]
	v_fma_f64 v[121:122], v[151:152], s[52:53], v[0:1]
	v_fma_f64 v[0:1], v[151:152], s[18:19], v[0:1]
	v_add_f64_e32 v[121:122], v[121:122], v[38:39]
	v_fma_f64 v[38:39], v[149:150], s[12:13], -v[2:3]
	v_fma_f64 v[2:3], v[149:150], s[12:13], v[2:3]
	s_delay_alu instid0(VALU_DEP_2) | instskip(SKIP_2) | instid1(VALU_DEP_2)
	v_add_f64_e32 v[119:120], v[38:39], v[119:120]
	v_fma_f64 v[38:39], v[32:33], s[16:17], v[127:128]
	v_fma_f64 v[127:128], v[36:37], s[38:39], v[131:132]
	v_add_f64_e32 v[38:39], v[38:39], v[86:87]
	v_fma_f64 v[86:87], v[30:31], s[10:11], -v[129:130]
	v_fma_f64 v[129:130], v[149:150], s[20:21], -v[171:172]
	s_delay_alu instid0(VALU_DEP_3) | instskip(SKIP_1) | instid1(VALU_DEP_3)
	v_add_f64_e32 v[38:39], v[127:128], v[38:39]
	s_wait_loadcnt 0x0
	v_add_f64_e32 v[86:87], v[86:87], v[90:91]
	v_fma_f64 v[127:128], v[40:41], s[30:31], -v[133:134]
	s_delay_alu instid0(VALU_DEP_1) | instskip(SKIP_1) | instid1(VALU_DEP_1)
	v_add_f64_e32 v[86:87], v[127:128], v[86:87]
	v_fma_f64 v[127:128], v[44:45], s[44:45], v[141:142]
	v_add_f64_e32 v[38:39], v[127:128], v[38:39]
	v_fma_f64 v[127:128], v[48:49], s[4:5], -v[143:144]
	s_delay_alu instid0(VALU_DEP_1) | instskip(SKIP_1) | instid1(VALU_DEP_1)
	v_add_f64_e32 v[86:87], v[127:128], v[86:87]
	v_fma_f64 v[127:128], v[52:53], s[34:35], v[145:146]
	;; [unrolled: 5-line block ×4, first 2 shown]
	v_add_f64_e32 v[38:39], v[127:128], v[38:39]
	v_fma_f64 v[127:128], v[80:81], s[0:1], -v[167:168]
	s_delay_alu instid0(VALU_DEP_1) | instskip(SKIP_1) | instid1(VALU_DEP_2)
	v_add_f64_e32 v[86:87], v[127:128], v[86:87]
	v_fma_f64 v[127:128], v[151:152], s[36:37], v[169:170]
	v_add_f64_e32 v[141:142], v[129:130], v[86:87]
	s_delay_alu instid0(VALU_DEP_2) | instskip(SKIP_4) | instid1(VALU_DEP_1)
	v_add_f64_e32 v[143:144], v[127:128], v[38:39]
	scratch_load_b64 v[38:39], off, off offset:84 th:TH_LOAD_LU ; 8-byte Folded Reload
	s_wait_loadcnt 0x0
	v_add_f64_e32 v[10:11], v[10:11], v[38:39]
	v_fma_f64 v[38:39], v[36:37], s[46:47], v[46:47]
	v_add_f64_e32 v[10:11], v[38:39], v[10:11]
	v_fma_f64 v[38:39], v[40:41], s[26:27], v[42:43]
	s_delay_alu instid0(VALU_DEP_1) | instskip(SKIP_1) | instid1(VALU_DEP_1)
	v_add_f64_e32 v[34:35], v[38:39], v[34:35]
	v_fma_f64 v[38:39], v[44:45], s[36:37], v[54:55]
	v_add_f64_e32 v[10:11], v[38:39], v[10:11]
	v_fma_f64 v[38:39], v[48:49], s[20:21], v[50:51]
	s_delay_alu instid0(VALU_DEP_1) | instskip(SKIP_1) | instid1(VALU_DEP_1)
	v_add_f64_e32 v[34:35], v[38:39], v[34:35]
	v_fma_f64 v[38:39], v[52:53], s[22:23], v[62:63]
	v_add_f64_e32 v[10:11], v[38:39], v[10:11]
	v_fma_f64 v[38:39], v[56:57], s[0:1], v[58:59]
	s_delay_alu instid0(VALU_DEP_1) | instskip(SKIP_1) | instid1(VALU_DEP_1)
	v_add_f64_e32 v[34:35], v[38:39], v[34:35]
	v_fma_f64 v[38:39], v[60:61], s[54:55], v[159:160]
	v_add_f64_e32 v[10:11], v[38:39], v[10:11]
	v_fma_f64 v[38:39], v[64:65], s[14:15], v[66:67]
	s_delay_alu instid0(VALU_DEP_1) | instskip(SKIP_1) | instid1(VALU_DEP_1)
	v_add_f64_e32 v[34:35], v[38:39], v[34:35]
	v_fma_f64 v[38:39], v[78:79], s[48:49], v[123:124]
	v_add_f64_e32 v[10:11], v[38:39], v[10:11]
	v_fma_f64 v[38:39], v[80:81], s[30:31], v[125:126]
	s_delay_alu instid0(VALU_DEP_2) | instskip(NEXT) | instid1(VALU_DEP_2)
	v_add_f64_e32 v[129:130], v[0:1], v[10:11]
	v_add_f64_e32 v[34:35], v[38:39], v[34:35]
	v_fma_f64 v[0:1], v[32:33], s[22:23], v[76:77]
	v_fma_f64 v[10:11], v[36:37], s[42:43], v[28:29]
	s_delay_alu instid0(VALU_DEP_3) | instskip(NEXT) | instid1(VALU_DEP_3)
	v_add_f64_e32 v[127:128], v[2:3], v[34:35]
	v_add_f64_e32 v[0:1], v[0:1], v[88:89]
	v_fma_f64 v[2:3], v[30:31], s[0:1], v[157:158]
	s_delay_alu instid0(VALU_DEP_2) | instskip(NEXT) | instid1(VALU_DEP_2)
	v_add_f64_e32 v[0:1], v[10:11], v[0:1]
	v_add_f64_e32 v[2:3], v[2:3], v[137:138]
	v_fma_f64 v[10:11], v[40:41], s[10:11], v[26:27]
	s_delay_alu instid0(VALU_DEP_1) | instskip(SKIP_1) | instid1(VALU_DEP_1)
	v_add_f64_e32 v[2:3], v[10:11], v[2:3]
	v_fma_f64 v[10:11], v[44:45], s[38:39], v[24:25]
	v_add_f64_e32 v[0:1], v[10:11], v[0:1]
	v_fma_f64 v[10:11], v[48:49], s[30:31], v[22:23]
	s_delay_alu instid0(VALU_DEP_1) | instskip(SKIP_1) | instid1(VALU_DEP_1)
	v_add_f64_e32 v[2:3], v[10:11], v[2:3]
	v_fma_f64 v[10:11], v[52:53], s[36:37], v[20:21]
	;; [unrolled: 5-line block ×3, first 2 shown]
	v_add_f64_e32 v[0:1], v[10:11], v[0:1]
	v_fma_f64 v[10:11], v[64:65], s[4:5], v[12:13]
	s_delay_alu instid0(VALU_DEP_2) | instskip(NEXT) | instid1(VALU_DEP_2)
	v_add_f64_e32 v[0:1], v[8:9], v[0:1]
	v_add_f64_e32 v[2:3], v[10:11], v[2:3]
	scratch_load_b64 v[8:9], off, off offset:44 th:TH_LOAD_LU ; 8-byte Folded Reload
	v_add_f64_e32 v[133:134], v[4:5], v[0:1]
	v_add_f64_e32 v[2:3], v[6:7], v[2:3]
	v_fma_f64 v[6:7], v[149:150], s[26:27], v[14:15]
	v_fma_f64 v[0:1], v[32:33], s[18:19], v[229:230]
	;; [unrolled: 1-line block ×3, first 2 shown]
	s_delay_alu instid0(VALU_DEP_3)
	v_add_f64_e32 v[131:132], v[6:7], v[2:3]
	scratch_load_b64 v[2:3], off, off offset:76 th:TH_LOAD_LU ; 8-byte Folded Reload
	v_fma_f64 v[6:7], v[149:150], s[4:5], v[74:75]
	s_wait_loadcnt 0x0
	v_add_f64_e32 v[0:1], v[0:1], v[2:3]
	v_fma_f64 v[2:3], v[30:31], s[12:13], v[231:232]
	s_delay_alu instid0(VALU_DEP_2) | instskip(NEXT) | instid1(VALU_DEP_2)
	v_add_f64_e32 v[0:1], v[4:5], v[0:1]
	v_add_f64_e32 v[2:3], v[2:3], v[139:140]
	v_fma_f64 v[4:5], v[40:41], s[0:1], v[235:236]
	s_delay_alu instid0(VALU_DEP_1) | instskip(SKIP_1) | instid1(VALU_DEP_1)
	v_add_f64_e32 v[2:3], v[4:5], v[2:3]
	v_fma_f64 v[4:5], v[44:45], s[42:43], v[237:238]
	v_add_f64_e32 v[0:1], v[4:5], v[0:1]
	v_fma_f64 v[4:5], v[48:49], s[10:11], v[239:240]
	s_delay_alu instid0(VALU_DEP_1) | instskip(SKIP_1) | instid1(VALU_DEP_1)
	v_add_f64_e32 v[2:3], v[4:5], v[2:3]
	v_fma_f64 v[4:5], v[52:53], s[46:47], v[241:242]
	v_add_f64_e32 v[0:1], v[4:5], v[0:1]
	v_fma_f64 v[4:5], v[56:57], s[26:27], v[243:244]
	s_delay_alu instid0(VALU_DEP_1) | instskip(SKIP_1) | instid1(VALU_DEP_1)
	v_add_f64_e32 v[2:3], v[4:5], v[2:3]
	v_fma_f64 v[4:5], v[60:61], s[48:49], v[245:246]
	v_add_f64_e32 v[0:1], v[4:5], v[0:1]
	v_fma_f64 v[4:5], v[64:65], s[30:31], v[247:248]
	s_delay_alu instid0(VALU_DEP_1) | instskip(SKIP_1) | instid1(VALU_DEP_1)
	v_add_f64_e32 v[2:3], v[4:5], v[2:3]
	v_fma_f64 v[4:5], v[78:79], s[34:35], v[249:250]
	v_add_f64_e32 v[0:1], v[4:5], v[0:1]
	v_fma_f64 v[4:5], v[80:81], s[14:15], v[251:252]
	s_delay_alu instid0(VALU_DEP_1) | instskip(SKIP_1) | instid1(VALU_DEP_2)
	v_add_f64_e32 v[2:3], v[4:5], v[2:3]
	v_fma_f64 v[4:5], v[151:152], s[24:25], v[253:254]
	v_add_f64_e32 v[135:136], v[6:7], v[2:3]
	scratch_load_b64 v[2:3], off, off offset:68 th:TH_LOAD_LU ; 8-byte Folded Reload
	v_add_f64_e32 v[137:138], v[4:5], v[0:1]
	scratch_load_b64 v[4:5], off, off offset:60 th:TH_LOAD_LU ; 8-byte Folded Reload
	v_fma_f64 v[0:1], v[32:33], s[34:35], v[201:202]
	v_fma_f64 v[6:7], v[149:150], s[30:31], v[227:228]
	s_wait_loadcnt 0x1
	s_delay_alu instid0(VALU_DEP_2) | instskip(SKIP_2) | instid1(VALU_DEP_1)
	v_add_f64_e32 v[0:1], v[0:1], v[2:3]
	v_fma_f64 v[2:3], v[30:31], s[14:15], v[203:204]
	s_wait_loadcnt 0x0
	v_add_f64_e32 v[2:3], v[2:3], v[4:5]
	v_fma_f64 v[4:5], v[36:37], s[18:19], v[205:206]
	s_delay_alu instid0(VALU_DEP_1) | instskip(SKIP_1) | instid1(VALU_DEP_1)
	v_add_f64_e32 v[0:1], v[4:5], v[0:1]
	v_fma_f64 v[4:5], v[40:41], s[12:13], v[207:208]
	v_add_f64_e32 v[2:3], v[4:5], v[2:3]
	v_fma_f64 v[4:5], v[44:45], s[22:23], v[209:210]
	s_delay_alu instid0(VALU_DEP_1) | instskip(SKIP_1) | instid1(VALU_DEP_1)
	v_add_f64_e32 v[0:1], v[4:5], v[0:1]
	v_fma_f64 v[4:5], v[48:49], s[0:1], v[211:212]
	;; [unrolled: 5-line block ×5, first 2 shown]
	v_add_f64_e32 v[2:3], v[4:5], v[2:3]
	v_fma_f64 v[4:5], v[151:152], s[38:39], v[225:226]
	s_delay_alu instid0(VALU_DEP_2)
	v_add_f64_e32 v[86:87], v[6:7], v[2:3]
	scratch_load_b64 v[6:7], off, off offset:52 th:TH_LOAD_LU ; 8-byte Folded Reload
	v_add_f64_e32 v[88:89], v[4:5], v[0:1]
	v_fma_f64 v[0:1], v[32:33], s[40:41], v[173:174]
	v_fma_f64 v[2:3], v[30:31], s[26:27], v[175:176]
	;; [unrolled: 1-line block ×3, first 2 shown]
	s_delay_alu instid0(VALU_DEP_2) | instskip(SKIP_4) | instid1(VALU_DEP_2)
	v_add_f64_e32 v[2:3], v[2:3], v[8:9]
	v_fma_f64 v[8:9], v[44:45], s[34:35], v[181:182]
	s_wait_loadcnt 0x0
	v_add_f64_e32 v[0:1], v[0:1], v[6:7]
	v_fma_f64 v[6:7], v[40:41], s[20:21], v[179:180]
	v_add_f64_e32 v[0:1], v[4:5], v[0:1]
	v_fma_f64 v[4:5], v[48:49], s[14:15], v[183:184]
	s_delay_alu instid0(VALU_DEP_3) | instskip(SKIP_1) | instid1(VALU_DEP_4)
	v_add_f64_e32 v[2:3], v[6:7], v[2:3]
	v_fma_f64 v[6:7], v[52:53], s[16:17], v[185:186]
	v_add_f64_e32 v[0:1], v[8:9], v[0:1]
	v_fma_f64 v[8:9], v[56:57], s[10:11], v[187:188]
	s_delay_alu instid0(VALU_DEP_4) | instskip(SKIP_1) | instid1(VALU_DEP_4)
	v_add_f64_e32 v[2:3], v[4:5], v[2:3]
	v_fma_f64 v[4:5], v[60:61], s[18:19], v[189:190]
	v_add_f64_e32 v[0:1], v[6:7], v[0:1]
	v_fma_f64 v[6:7], v[64:65], s[12:13], v[191:192]
	s_delay_alu instid0(VALU_DEP_4) | instskip(SKIP_1) | instid1(VALU_DEP_4)
	;; [unrolled: 5-line block ×3, first 2 shown]
	v_add_f64_e32 v[2:3], v[6:7], v[2:3]
	v_fma_f64 v[6:7], v[151:152], s[22:23], v[197:198]
	v_add_f64_e32 v[0:1], v[8:9], v[0:1]
	v_fma_f64 v[8:9], v[149:150], s[0:1], v[199:200]
	s_delay_alu instid0(VALU_DEP_4) | instskip(NEXT) | instid1(VALU_DEP_3)
	v_add_f64_e32 v[2:3], v[4:5], v[2:3]
	v_add_f64_e32 v[18:19], v[6:7], v[0:1]
	v_mul_u32_u24_e32 v0, 0x110, v70
	s_delay_alu instid0(VALU_DEP_3)
	v_add_f64_e32 v[16:17], v[8:9], v[2:3]
	scratch_load_b128 v[1:4], off, off offset:12 th:TH_LOAD_LU ; 16-byte Folded Reload
	v_add3_u32 v0, 0, v0, v255
	s_wait_loadcnt 0x0
	ds_store_b128 v0, v[1:4]
	ds_store_b128 v0, v[103:106] offset:16
	ds_store_b128 v0, v[107:110] offset:32
	;; [unrolled: 1-line block ×4, first 2 shown]
	v_mov_b32_e32 v117, v94
	s_clause 0x1
	scratch_load_b32 v94, off, off offset:8
	scratch_load_b64 v[115:116], off, off
	ds_store_b128 v0, v[119:122] offset:80
	ds_store_b128 v0, v[141:144] offset:96
	;; [unrolled: 1-line block ×4, first 2 shown]
	scratch_load_b128 v[1:4], off, off offset:28 th:TH_LOAD_LU ; 16-byte Folded Reload
	v_lshlrev_b64_e32 v[113:114], 4, v[70:71]
	s_wait_loadcnt 0x0
	ds_store_b128 v0, v[1:4] offset:144
	ds_store_b128 v0, v[82:85] offset:160
	;; [unrolled: 1-line block ×8, first 2 shown]
.LBB0_20:
	s_or_b32 exec_lo, exec_lo, s33
	v_add_nc_u16 v3, v70, 34
	v_add_nc_u16 v9, v70, 0x44
	;; [unrolled: 1-line block ×5, first 2 shown]
	v_dual_mov_b32 v1, v71 :: v_dual_and_b32 v0, 0xff, v3
	v_and_b32_e32 v4, 0xff, v9
	v_and_b32_e32 v5, 0xff, v10
	v_add_nc_u16 v13, v70, 0xcc
	s_delay_alu instid0(VALU_DEP_4)
	v_mul_lo_u16 v0, 0xf1, v0
	v_and_b32_e32 v6, 0xff, v11
	v_mul_lo_u16 v4, 0xf1, v4
	v_and_b32_e32 v8, 0xff, v12
	v_mul_lo_u16 v5, 0xf1, v5
	v_lshrrev_b16 v67, 12, v0
	v_and_b32_e32 v14, 0xff, v13
	v_subrev_nc_u32_e32 v2, 17, v70
	v_cmp_gt_u32_e64 s0, 17, v70
	v_mul_lo_u16 v6, 0xf1, v6
	v_lshrrev_b16 v82, 12, v4
	v_mul_lo_u16 v15, 0xf1, v8
	v_lshrrev_b16 v83, 12, v5
	v_mul_lo_u16 v7, v67, 17
	v_mul_lo_u16 v14, 0xf1, v14
	s_wait_alu 0xf1ff
	v_cndmask_b32_e64 v0, v2, v70, s0
	v_lshrrev_b16 v84, 12, v6
	v_mul_lo_u16 v16, v82, 17
	v_lshrrev_b16 v85, 12, v15
	v_mul_lo_u16 v15, v83, 17
	v_sub_nc_u16 v3, v3, v7
	v_lshrrev_b16 v86, 12, v14
	v_lshlrev_b64_e32 v[1:2], 4, v[0:1]
	v_mul_lo_u16 v14, v84, 17
	v_sub_nc_u16 v9, v9, v16
	v_mul_lo_u16 v16, v85, 17
	v_sub_nc_u16 v10, v10, v15
	v_and_b32_e32 v3, 0xff, v3
	v_mul_lo_u16 v15, v86, 17
	v_add_co_u32 v1, s0, s8, v1
	v_sub_nc_u16 v11, v11, v14
	v_and_b32_e32 v9, 0xff, v9
	s_wait_alu 0xf1ff
	v_add_co_ci_u32_e64 v2, s0, s9, v2, s0
	v_sub_nc_u16 v12, v12, v16
	v_and_b32_e32 v10, 0xff, v10
	v_lshlrev_b32_e32 v71, 4, v3
	v_sub_nc_u16 v13, v13, v15
	v_and_b32_e32 v11, 0xff, v11
	v_lshlrev_b32_e32 v87, 4, v9
	global_wb scope:SCOPE_SE
	s_wait_storecnt_dscnt 0x0
	s_barrier_signal -1
	s_barrier_wait -1
	global_inv scope:SCOPE_SE
	s_clause 0x1
	global_load_b128 v[1:4], v[1:2], off
	global_load_b128 v[5:8], v71, s[8:9]
	v_and_b32_e32 v14, 0xff, v12
	v_lshlrev_b32_e32 v88, 4, v10
	v_and_b32_e32 v17, 0xff, v13
	v_lshlrev_b32_e32 v89, 4, v11
	global_load_b128 v[9:12], v87, s[8:9]
	v_lshlrev_b32_e32 v90, 4, v14
	global_load_b128 v[13:16], v88, s[8:9]
	v_lshlrev_b32_e32 v91, 4, v17
	s_clause 0x2
	global_load_b128 v[17:20], v89, s[8:9]
	global_load_b128 v[21:24], v90, s[8:9]
	;; [unrolled: 1-line block ×3, first 2 shown]
	ds_load_b128 v[29:32], v93 offset:3808
	ds_load_b128 v[33:36], v93 offset:4352
	;; [unrolled: 1-line block ×8, first 2 shown]
	v_cmp_lt_u32_e64 s0, 16, v70
	s_mov_b32 s10, 0xe976ee23
	s_mov_b32 s12, 0x429ad128
	;; [unrolled: 1-line block ×11, first 2 shown]
	s_wait_alu 0xfffe
	s_mov_b32 s18, s16
	s_wait_loadcnt_dscnt 0x607
	v_mul_f64_e32 v[61:62], v[31:32], v[3:4]
	v_mul_f64_e32 v[3:4], v[29:30], v[3:4]
	s_wait_loadcnt_dscnt 0x506
	v_mul_f64_e32 v[63:64], v[35:36], v[7:8]
	v_mul_f64_e32 v[7:8], v[33:34], v[7:8]
	;; [unrolled: 3-line block ×7, first 2 shown]
	v_fma_f64 v[29:30], v[29:30], v[1:2], -v[61:62]
	v_fma_f64 v[31:32], v[31:32], v[1:2], v[3:4]
	v_fma_f64 v[33:34], v[33:34], v[5:6], -v[63:64]
	v_fma_f64 v[35:36], v[35:36], v[5:6], v[7:8]
	v_lshlrev_b32_e32 v63, 4, v0
	v_mul_u32_u24_e32 v61, 6, v70
	v_fma_f64 v[37:38], v[37:38], v[9:10], -v[65:66]
	v_fma_f64 v[39:40], v[39:40], v[9:10], v[11:12]
	v_fma_f64 v[41:42], v[41:42], v[13:14], -v[74:75]
	v_fma_f64 v[43:44], v[43:44], v[13:14], v[15:16]
	;; [unrolled: 2-line block ×5, first 2 shown]
	ds_load_b128 v[1:4], v92
	ds_load_b128 v[5:8], v93 offset:544
	ds_load_b128 v[9:12], v93 offset:1088
	;; [unrolled: 1-line block ×5, first 2 shown]
	global_wb scope:SCOPE_SE
	s_wait_dscnt 0x0
	s_barrier_signal -1
	s_barrier_wait -1
	global_inv scope:SCOPE_SE
	v_add_f64_e64 v[25:26], v[1:2], -v[29:30]
	v_add_f64_e64 v[27:28], v[3:4], -v[31:32]
	;; [unrolled: 1-line block ×14, first 2 shown]
	v_cndmask_b32_e64 v53, 0, 0x220, s0
	s_mov_b32 s0, 0x37e14327
	s_mov_b32 s1, 0x3fe948f6
	s_delay_alu instid0(VALU_DEP_1)
	v_add_nc_u32_e32 v62, 0, v53
	v_fma_f64 v[0:1], v[1:2], 2.0, -v[25:26]
	v_fma_f64 v[2:3], v[3:4], 2.0, -v[27:28]
	;; [unrolled: 1-line block ×14, first 2 shown]
	v_and_b32_e32 v58, 0xffff, v67
	v_and_b32_e32 v59, 0xffff, v82
	v_lshlrev_b32_e32 v24, 4, v61
	v_add3_u32 v57, v62, v63, v255
	v_and_b32_e32 v60, 0xffff, v83
	v_and_b32_e32 v61, 0xffff, v84
	;; [unrolled: 1-line block ×4, first 2 shown]
	v_mad_u32_u24 v58, 0x220, v58, 0
	v_mad_u32_u24 v59, 0x220, v59, 0
	;; [unrolled: 1-line block ×6, first 2 shown]
	v_add3_u32 v58, v58, v71, v255
	v_add3_u32 v59, v59, v87, v255
	;; [unrolled: 1-line block ×6, first 2 shown]
	ds_store_b128 v57, v[0:3]
	ds_store_b128 v57, v[25:28] offset:272
	ds_store_b128 v58, v[4:7]
	ds_store_b128 v58, v[29:32] offset:272
	;; [unrolled: 2-line block ×7, first 2 shown]
	global_wb scope:SCOPE_SE
	s_wait_dscnt 0x0
	s_barrier_signal -1
	s_barrier_wait -1
	global_inv scope:SCOPE_SE
	s_clause 0x5
	global_load_b128 v[0:3], v24, s[8:9] offset:272
	global_load_b128 v[4:7], v24, s[8:9] offset:288
	;; [unrolled: 1-line block ×6, first 2 shown]
	ds_load_b128 v[24:27], v93 offset:1088
	ds_load_b128 v[28:31], v93 offset:2176
	;; [unrolled: 1-line block ×12, first 2 shown]
	s_wait_loadcnt_dscnt 0x50b
	v_mul_f64_e32 v[74:75], v[26:27], v[2:3]
	v_mul_f64_e32 v[76:77], v[24:25], v[2:3]
	s_wait_loadcnt_dscnt 0x40a
	v_mul_f64_e32 v[82:83], v[30:31], v[6:7]
	v_mul_f64_e32 v[84:85], v[28:29], v[6:7]
	;; [unrolled: 3-line block ×4, first 2 shown]
	s_wait_dscnt 0x7
	v_mul_f64_e32 v[97:98], v[42:43], v[2:3]
	v_mul_f64_e32 v[2:3], v[40:41], v[2:3]
	s_wait_dscnt 0x6
	v_mul_f64_e32 v[99:100], v[46:47], v[6:7]
	v_mul_f64_e32 v[6:7], v[44:45], v[6:7]
	;; [unrolled: 3-line block ×4, first 2 shown]
	s_wait_loadcnt_dscnt 0x102
	v_mul_f64_e32 v[105:106], v[62:63], v[18:19]
	v_mul_f64_e32 v[107:108], v[60:61], v[18:19]
	s_wait_loadcnt 0x0
	v_mul_f64_e32 v[109:110], v[58:59], v[22:23]
	v_mul_f64_e32 v[111:112], v[56:57], v[22:23]
	v_fma_f64 v[24:25], v[24:25], v[0:1], -v[74:75]
	v_fma_f64 v[26:27], v[26:27], v[0:1], v[76:77]
	v_fma_f64 v[28:29], v[28:29], v[4:5], -v[82:83]
	v_fma_f64 v[30:31], v[30:31], v[4:5], v[84:85]
	;; [unrolled: 2-line block ×4, first 2 shown]
	s_wait_dscnt 0x1
	v_mul_f64_e32 v[74:75], v[66:67], v[18:19]
	v_mul_f64_e32 v[18:19], v[64:65], v[18:19]
	s_wait_dscnt 0x0
	v_mul_f64_e32 v[76:77], v[80:81], v[22:23]
	v_mul_f64_e32 v[22:23], v[78:79], v[22:23]
	v_fma_f64 v[40:41], v[40:41], v[0:1], -v[97:98]
	v_fma_f64 v[0:1], v[42:43], v[0:1], v[2:3]
	v_fma_f64 v[2:3], v[44:45], v[4:5], -v[99:100]
	v_fma_f64 v[4:5], v[46:47], v[4:5], v[6:7]
	;; [unrolled: 2-line block ×6, first 2 shown]
	v_add_f64_e32 v[48:49], v[24:25], v[32:33]
	v_add_f64_e32 v[50:51], v[26:27], v[34:35]
	;; [unrolled: 1-line block ×4, first 2 shown]
	v_fma_f64 v[56:57], v[64:65], v[16:17], -v[74:75]
	v_fma_f64 v[16:17], v[66:67], v[16:17], v[18:19]
	v_fma_f64 v[18:19], v[78:79], v[20:21], -v[76:77]
	v_fma_f64 v[20:21], v[80:81], v[20:21], v[22:23]
	v_add_f64_e64 v[28:29], v[28:29], -v[36:37]
	v_add_f64_e64 v[30:31], v[30:31], -v[38:39]
	;; [unrolled: 1-line block ×4, first 2 shown]
	v_add_f64_e32 v[22:23], v[40:41], v[6:7]
	v_add_f64_e32 v[58:59], v[0:1], v[8:9]
	;; [unrolled: 1-line block ×4, first 2 shown]
	v_add_f64_e64 v[10:11], v[2:3], -v[10:11]
	v_add_f64_e64 v[12:13], v[4:5], -v[12:13]
	v_add_f64_e32 v[64:65], v[14:15], v[44:45]
	v_add_f64_e32 v[66:67], v[42:43], v[46:47]
	v_add_f64_e64 v[14:15], v[44:45], -v[14:15]
	v_add_f64_e64 v[36:37], v[46:47], -v[42:43]
	;; [unrolled: 1-line block ×3, first 2 shown]
	v_add_f64_e32 v[32:33], v[52:53], v[48:49]
	v_add_f64_e32 v[34:35], v[54:55], v[50:51]
	;; [unrolled: 1-line block ×4, first 2 shown]
	v_add_f64_e64 v[18:19], v[18:19], -v[56:57]
	v_add_f64_e64 v[16:17], v[20:21], -v[16:17]
	;; [unrolled: 1-line block ×5, first 2 shown]
	v_add_f64_e32 v[0:1], v[60:61], v[22:23]
	v_add_f64_e32 v[6:7], v[62:63], v[58:59]
	v_add_f64_e64 v[38:39], v[48:49], -v[64:65]
	v_add_f64_e64 v[40:41], v[50:51], -v[66:67]
	;; [unrolled: 1-line block ×7, first 2 shown]
	v_add_f64_e32 v[28:29], v[14:15], v[28:29]
	v_add_f64_e32 v[30:31], v[36:37], v[30:31]
	v_add_f64_e64 v[14:15], v[24:25], -v[14:15]
	v_add_f64_e64 v[36:37], v[26:27], -v[36:37]
	;; [unrolled: 1-line block ×4, first 2 shown]
	v_add_f64_e32 v[32:33], v[64:65], v[32:33]
	v_add_f64_e32 v[34:35], v[66:67], v[34:35]
	v_add_f64_e64 v[64:65], v[22:23], -v[2:3]
	v_add_f64_e64 v[66:67], v[58:59], -v[4:5]
	;; [unrolled: 1-line block ×7, first 2 shown]
	v_add_f64_e32 v[10:11], v[18:19], v[10:11]
	v_add_f64_e32 v[86:87], v[2:3], v[0:1]
	v_add_f64_e32 v[88:89], v[4:5], v[6:7]
	ds_load_b128 v[0:3], v92
	ds_load_b128 v[4:7], v93 offset:544
	v_add_f64_e32 v[12:13], v[16:17], v[12:13]
	s_wait_alu 0xfffe
	v_mul_f64_e32 v[38:39], s[0:1], v[38:39]
	v_mul_f64_e32 v[40:41], s[0:1], v[40:41]
	;; [unrolled: 1-line block ×8, first 2 shown]
	v_add_f64_e64 v[18:19], v[20:21], -v[18:19]
	v_add_f64_e64 v[16:17], v[8:9], -v[16:17]
	v_mul_f64_e32 v[103:104], s[12:13], v[84:85]
	v_add_f64_e64 v[22:23], v[60:61], -v[22:23]
	v_add_f64_e64 v[58:59], v[62:63], -v[58:59]
	v_add_f64_e32 v[24:25], v[28:29], v[24:25]
	v_add_f64_e32 v[26:27], v[30:31], v[26:27]
	global_wb scope:SCOPE_SE
	s_wait_dscnt 0x0
	s_barrier_signal -1
	s_barrier_wait -1
	global_inv scope:SCOPE_SE
	v_add_f64_e32 v[0:1], v[0:1], v[32:33]
	v_add_f64_e32 v[2:3], v[2:3], v[34:35]
	v_mul_f64_e32 v[64:65], s[0:1], v[64:65]
	v_mul_f64_e32 v[66:67], s[0:1], v[66:67]
	;; [unrolled: 1-line block ×7, first 2 shown]
	s_mov_b32 s0, 0x5476071b
	v_add_f64_e32 v[4:5], v[4:5], v[86:87]
	v_add_f64_e32 v[6:7], v[6:7], v[88:89]
	s_mov_b32 s1, 0x3fe77f67
	s_mov_b32 s11, 0xbfe77f67
	s_wait_alu 0xfffe
	s_mov_b32 s10, s0
	v_add_f64_e32 v[10:11], v[10:11], v[20:21]
	v_add_f64_e32 v[8:9], v[12:13], v[8:9]
	v_fma_f64 v[12:13], v[42:43], s[4:5], v[38:39]
	v_fma_f64 v[20:21], v[44:45], s[4:5], v[40:41]
	;; [unrolled: 1-line block ×4, first 2 shown]
	v_fma_f64 v[46:47], v[74:75], s[12:13], -v[46:47]
	v_fma_f64 v[14:15], v[14:15], s[18:19], -v[97:98]
	;; [unrolled: 1-line block ×5, first 2 shown]
	s_wait_alu 0xfffe
	v_fma_f64 v[38:39], v[48:49], s[10:11], -v[38:39]
	v_fma_f64 v[40:41], v[50:51], s[10:11], -v[40:41]
	;; [unrolled: 1-line block ×3, first 2 shown]
	v_fma_f64 v[32:33], v[32:33], s[14:15], v[0:1]
	v_fma_f64 v[34:35], v[34:35], s[14:15], v[2:3]
	;; [unrolled: 1-line block ×6, first 2 shown]
	v_fma_f64 v[74:75], v[82:83], s[12:13], -v[78:79]
	v_fma_f64 v[76:77], v[84:85], s[12:13], -v[80:81]
	;; [unrolled: 1-line block ×4, first 2 shown]
	v_fma_f64 v[78:79], v[86:87], s[14:15], v[4:5]
	v_fma_f64 v[80:81], v[88:89], s[14:15], v[6:7]
	v_fma_f64 v[64:65], v[22:23], s[10:11], -v[64:65]
	v_fma_f64 v[66:67], v[58:59], s[10:11], -v[66:67]
	;; [unrolled: 1-line block ×4, first 2 shown]
	s_mov_b32 s0, 0x37c3f68c
	s_mov_b32 s1, 0x3fdc38aa
	s_wait_alu 0xfffe
	v_fma_f64 v[42:43], v[24:25], s[0:1], v[42:43]
	v_fma_f64 v[44:45], v[26:27], s[0:1], v[44:45]
	;; [unrolled: 1-line block ×6, first 2 shown]
	v_add_f64_e32 v[36:37], v[12:13], v[32:33]
	v_add_f64_e32 v[62:63], v[20:21], v[34:35]
	;; [unrolled: 1-line block ×6, first 2 shown]
	v_fma_f64 v[54:55], v[10:11], s[0:1], v[54:55]
	v_fma_f64 v[56:57], v[8:9], s[0:1], v[56:57]
	;; [unrolled: 1-line block ×6, first 2 shown]
	v_add_f64_e32 v[86:87], v[48:49], v[78:79]
	v_add_f64_e32 v[88:89], v[50:51], v[80:81]
	v_add_f64_e32 v[48:49], v[64:65], v[78:79]
	v_add_f64_e32 v[50:51], v[66:67], v[80:81]
	v_add_f64_e32 v[64:65], v[22:23], v[78:79]
	v_add_f64_e32 v[58:59], v[58:59], v[80:81]
	v_add_f64_e32 v[8:9], v[44:45], v[36:37]
	v_add_f64_e64 v[10:11], v[62:63], -v[42:43]
	v_add_f64_e32 v[12:13], v[24:25], v[26:27]
	v_add_f64_e64 v[14:15], v[38:39], -v[60:61]
	v_add_f64_e64 v[16:17], v[20:21], -v[52:53]
	v_add_f64_e32 v[18:19], v[46:47], v[28:29]
	v_add_f64_e32 v[20:21], v[52:53], v[20:21]
	v_add_f64_e64 v[22:23], v[28:29], -v[46:47]
	v_add_f64_e64 v[24:25], v[26:27], -v[24:25]
	v_add_f64_e32 v[26:27], v[60:61], v[38:39]
	v_add_f64_e64 v[28:29], v[36:37], -v[44:45]
	v_add_f64_e32 v[30:31], v[42:43], v[62:63]
	v_add_f64_e32 v[32:33], v[56:57], v[86:87]
	v_add_f64_e64 v[34:35], v[88:89], -v[54:55]
	v_add_f64_e32 v[36:37], v[84:85], v[48:49]
	v_add_f64_e64 v[38:39], v[50:51], -v[82:83]
	v_add_f64_e64 v[40:41], v[64:65], -v[76:77]
	v_add_f64_e32 v[42:43], v[74:75], v[58:59]
	v_add_f64_e32 v[44:45], v[76:77], v[64:65]
	v_add_f64_e64 v[46:47], v[58:59], -v[74:75]
	v_add_f64_e64 v[48:49], v[48:49], -v[84:85]
	v_add_f64_e32 v[50:51], v[82:83], v[50:51]
	v_add_f64_e64 v[52:53], v[86:87], -v[56:57]
	v_add_f64_e32 v[54:55], v[54:55], v[88:89]
	v_add_co_u32 v56, s0, s8, v115
	s_wait_alu 0xf1ff
	v_add_co_ci_u32_e64 v57, s0, s9, v116, s0
	v_add_co_u32 v58, s0, s8, v113
	s_wait_alu 0xf1ff
	v_add_co_ci_u32_e64 v59, s0, s9, v114, s0
	ds_store_b128 v93, v[0:3]
	ds_store_b128 v93, v[8:11] offset:544
	ds_store_b128 v93, v[12:15] offset:1088
	;; [unrolled: 1-line block ×13, first 2 shown]
	global_wb scope:SCOPE_SE
	s_wait_dscnt 0x0
	s_barrier_signal -1
	s_barrier_wait -1
	global_inv scope:SCOPE_SE
	s_clause 0x6
	global_load_b128 v[0:3], v[56:57], off offset:3536
	global_load_b128 v[4:7], v[58:59], off offset:4080
	;; [unrolled: 1-line block ×7, first 2 shown]
	ds_load_b128 v[28:31], v93 offset:3808
	ds_load_b128 v[32:35], v93 offset:4352
	;; [unrolled: 1-line block ×8, first 2 shown]
	s_wait_loadcnt_dscnt 0x607
	v_mul_f64_e32 v[60:61], v[30:31], v[2:3]
	v_mul_f64_e32 v[2:3], v[28:29], v[2:3]
	s_wait_loadcnt_dscnt 0x506
	v_mul_f64_e32 v[62:63], v[34:35], v[6:7]
	v_mul_f64_e32 v[6:7], v[32:33], v[6:7]
	;; [unrolled: 3-line block ×7, first 2 shown]
	v_fma_f64 v[28:29], v[28:29], v[0:1], -v[60:61]
	v_fma_f64 v[30:31], v[30:31], v[0:1], v[2:3]
	v_fma_f64 v[32:33], v[32:33], v[4:5], -v[62:63]
	v_fma_f64 v[34:35], v[34:35], v[4:5], v[6:7]
	;; [unrolled: 2-line block ×7, first 2 shown]
	ds_load_b128 v[0:3], v92
	ds_load_b128 v[4:7], v93 offset:544
	ds_load_b128 v[8:11], v93 offset:1088
	;; [unrolled: 1-line block ×5, first 2 shown]
	global_wb scope:SCOPE_SE
	s_wait_dscnt 0x0
	s_barrier_signal -1
	s_barrier_wait -1
	global_inv scope:SCOPE_SE
	v_add_f64_e64 v[24:25], v[0:1], -v[28:29]
	v_add_f64_e64 v[26:27], v[2:3], -v[30:31]
	;; [unrolled: 1-line block ×14, first 2 shown]
	v_fma_f64 v[0:1], v[0:1], 2.0, -v[24:25]
	v_fma_f64 v[2:3], v[2:3], 2.0, -v[26:27]
	;; [unrolled: 1-line block ×14, first 2 shown]
	v_add_nc_u32_e32 v56, v117, v255
	ds_store_b128 v56, v[28:31] offset:4352
	ds_store_b128 v56, v[32:35] offset:4896
	;; [unrolled: 1-line block ×6, first 2 shown]
	ds_store_b128 v93, v[0:3]
	ds_store_b128 v93, v[4:7] offset:544
	ds_store_b128 v93, v[8:11] offset:1088
	ds_store_b128 v93, v[12:15] offset:1632
	ds_store_b128 v93, v[16:19] offset:2176
	ds_store_b128 v93, v[20:23] offset:2720
	ds_store_b128 v93, v[24:27] offset:3808
	ds_store_b128 v93, v[52:55] offset:3264
	global_wb scope:SCOPE_SE
	s_wait_dscnt 0x0
	s_barrier_signal -1
	s_barrier_wait -1
	global_inv scope:SCOPE_SE
	s_and_saveexec_b32 s0, vcc_lo
	s_cbranch_execz .LBB0_22
; %bb.21:
	v_mul_lo_u32 v2, s3, v72
	v_mul_lo_u32 v3, s2, v73
	v_mad_co_u64_u32 v[0:1], null, s2, v72, 0
	v_dual_mov_b32 v71, 0 :: v_dual_add_nc_u32 v10, 34, v70
	v_lshlrev_b64_e32 v[8:9], 4, v[68:69]
	v_lshl_add_u32 v34, v70, 4, v94
	s_delay_alu instid0(VALU_DEP_3) | instskip(SKIP_4) | instid1(VALU_DEP_4)
	v_dual_mov_b32 v11, v71 :: v_dual_add_nc_u32 v12, 0x44, v70
	v_add3_u32 v1, v1, v3, v2
	v_lshlrev_b64_e32 v[14:15], 4, v[70:71]
	v_dual_mov_b32 v13, v71 :: v_dual_add_nc_u32 v22, 0x66, v70
	v_dual_mov_b32 v23, v71 :: v_dual_add_nc_u32 v24, 0x88, v70
	v_lshlrev_b64_e32 v[16:17], 4, v[0:1]
	ds_load_b128 v[0:3], v34
	ds_load_b128 v[4:7], v34 offset:544
	v_mov_b32_e32 v25, v71
	v_lshlrev_b64_e32 v[22:23], 4, v[22:23]
	v_add_co_u32 v18, vcc_lo, s6, v16
	s_wait_alu 0xfffd
	v_add_co_ci_u32_e32 v19, vcc_lo, s7, v17, vcc_lo
	v_lshlrev_b64_e32 v[16:17], 4, v[10:11]
	s_delay_alu instid0(VALU_DEP_3) | instskip(SKIP_1) | instid1(VALU_DEP_3)
	v_add_co_u32 v36, vcc_lo, v18, v8
	s_wait_alu 0xfffd
	v_add_co_ci_u32_e32 v37, vcc_lo, v19, v9, vcc_lo
	v_lshlrev_b64_e32 v[18:19], 4, v[12:13]
	s_delay_alu instid0(VALU_DEP_3) | instskip(SKIP_1) | instid1(VALU_DEP_3)
	v_add_co_u32 v20, vcc_lo, v36, v14
	s_wait_alu 0xfffd
	v_add_co_ci_u32_e32 v21, vcc_lo, v37, v15, vcc_lo
	ds_load_b128 v[8:11], v34 offset:1088
	ds_load_b128 v[12:15], v34 offset:1632
	v_add_co_u32 v16, vcc_lo, v36, v16
	s_wait_alu 0xfffd
	v_add_co_ci_u32_e32 v17, vcc_lo, v37, v17, vcc_lo
	v_add_co_u32 v18, vcc_lo, v36, v18
	s_wait_alu 0xfffd
	v_add_co_ci_u32_e32 v19, vcc_lo, v37, v19, vcc_lo
	;; [unrolled: 3-line block ×3, first 2 shown]
	s_wait_dscnt 0x3
	global_store_b128 v[20:21], v[0:3], off
	s_wait_dscnt 0x2
	global_store_b128 v[16:17], v[4:7], off
	;; [unrolled: 2-line block ×4, first 2 shown]
	v_add_nc_u32_e32 v8, 0xaa, v70
	v_lshlrev_b64_e32 v[0:1], 4, v[24:25]
	v_dual_mov_b32 v9, v71 :: v_dual_add_nc_u32 v10, 0xcc, v70
	v_dual_mov_b32 v11, v71 :: v_dual_add_nc_u32 v22, 0xee, v70
	;; [unrolled: 1-line block ×3, first 2 shown]
	s_delay_alu instid0(VALU_DEP_4)
	v_add_co_u32 v16, vcc_lo, v36, v0
	s_wait_alu 0xfffd
	v_add_co_ci_u32_e32 v17, vcc_lo, v37, v1, vcc_lo
	ds_load_b128 v[0:3], v34 offset:2176
	ds_load_b128 v[4:7], v34 offset:2720
	v_lshlrev_b64_e32 v[18:19], 4, v[8:9]
	v_lshlrev_b64_e32 v[20:21], 4, v[10:11]
	ds_load_b128 v[8:11], v34 offset:3264
	ds_load_b128 v[12:15], v34 offset:3808
	v_lshlrev_b64_e32 v[22:23], 4, v[22:23]
	v_add_co_u32 v18, vcc_lo, v36, v18
	s_wait_alu 0xfffd
	v_add_co_ci_u32_e32 v19, vcc_lo, v37, v19, vcc_lo
	v_add_co_u32 v20, vcc_lo, v36, v20
	s_wait_alu 0xfffd
	v_add_co_ci_u32_e32 v21, vcc_lo, v37, v21, vcc_lo
	v_add_co_u32 v22, vcc_lo, v36, v22
	s_wait_dscnt 0x3
	global_store_b128 v[16:17], v[0:3], off
	s_wait_dscnt 0x2
	global_store_b128 v[18:19], v[4:7], off
	v_dual_mov_b32 v3, v71 :: v_dual_add_nc_u32 v2, 0x132, v70
	s_wait_alu 0xfffd
	v_add_co_ci_u32_e32 v23, vcc_lo, v37, v23, vcc_lo
	v_lshlrev_b64_e32 v[0:1], 4, v[24:25]
	s_wait_dscnt 0x1
	global_store_b128 v[20:21], v[8:11], off
	s_wait_dscnt 0x0
	global_store_b128 v[22:23], v[12:15], off
	v_lshlrev_b64_e32 v[8:9], 4, v[2:3]
	v_dual_mov_b32 v11, v71 :: v_dual_add_nc_u32 v10, 0x154, v70
	v_add_co_u32 v24, vcc_lo, v36, v0
	s_wait_alu 0xfffd
	v_add_co_ci_u32_e32 v25, vcc_lo, v37, v1, vcc_lo
	s_delay_alu instid0(VALU_DEP_4)
	v_add_co_u32 v26, vcc_lo, v36, v8
	s_wait_alu 0xfffd
	v_add_co_ci_u32_e32 v27, vcc_lo, v37, v9, vcc_lo
	v_lshlrev_b64_e32 v[8:9], 4, v[10:11]
	v_dual_mov_b32 v17, v71 :: v_dual_add_nc_u32 v16, 0x176, v70
	v_dual_mov_b32 v19, v71 :: v_dual_add_nc_u32 v18, 0x198, v70
	ds_load_b128 v[0:3], v34 offset:4352
	ds_load_b128 v[4:7], v34 offset:4896
	v_add_co_u32 v28, vcc_lo, v36, v8
	s_wait_alu 0xfffd
	v_add_co_ci_u32_e32 v29, vcc_lo, v37, v9, vcc_lo
	ds_load_b128 v[8:11], v34 offset:5440
	ds_load_b128 v[12:15], v34 offset:5984
	v_lshlrev_b64_e32 v[30:31], 4, v[16:17]
	v_lshlrev_b64_e32 v[32:33], 4, v[18:19]
	ds_load_b128 v[16:19], v34 offset:6528
	ds_load_b128 v[20:23], v34 offset:7072
	v_add_nc_u32_e32 v70, 0x1ba, v70
	v_add_co_u32 v30, vcc_lo, v36, v30
	s_delay_alu instid0(VALU_DEP_2)
	v_lshlrev_b64_e32 v[34:35], 4, v[70:71]
	s_wait_alu 0xfffd
	v_add_co_ci_u32_e32 v31, vcc_lo, v37, v31, vcc_lo
	v_add_co_u32 v32, vcc_lo, v36, v32
	s_wait_alu 0xfffd
	v_add_co_ci_u32_e32 v33, vcc_lo, v37, v33, vcc_lo
	v_add_co_u32 v34, vcc_lo, v36, v34
	s_wait_alu 0xfffd
	v_add_co_ci_u32_e32 v35, vcc_lo, v37, v35, vcc_lo
	s_wait_dscnt 0x5
	global_store_b128 v[24:25], v[0:3], off
	s_wait_dscnt 0x4
	global_store_b128 v[26:27], v[4:7], off
	;; [unrolled: 2-line block ×6, first 2 shown]
.LBB0_22:
	s_nop 0
	s_sendmsg sendmsg(MSG_DEALLOC_VGPRS)
	s_endpgm
	.section	.rodata,"a",@progbits
	.p2align	6, 0x0
	.amdhsa_kernel fft_rtc_fwd_len476_factors_17_2_7_2_wgs_102_tpt_34_halfLds_dp_op_CI_CI_unitstride_sbrr_C2R_dirReg
		.amdhsa_group_segment_fixed_size 0
		.amdhsa_private_segment_fixed_size 104
		.amdhsa_kernarg_size 104
		.amdhsa_user_sgpr_count 2
		.amdhsa_user_sgpr_dispatch_ptr 0
		.amdhsa_user_sgpr_queue_ptr 0
		.amdhsa_user_sgpr_kernarg_segment_ptr 1
		.amdhsa_user_sgpr_dispatch_id 0
		.amdhsa_user_sgpr_private_segment_size 0
		.amdhsa_wavefront_size32 1
		.amdhsa_uses_dynamic_stack 0
		.amdhsa_enable_private_segment 1
		.amdhsa_system_sgpr_workgroup_id_x 1
		.amdhsa_system_sgpr_workgroup_id_y 0
		.amdhsa_system_sgpr_workgroup_id_z 0
		.amdhsa_system_sgpr_workgroup_info 0
		.amdhsa_system_vgpr_workitem_id 0
		.amdhsa_next_free_vgpr 256
		.amdhsa_next_free_sgpr 56
		.amdhsa_reserve_vcc 1
		.amdhsa_float_round_mode_32 0
		.amdhsa_float_round_mode_16_64 0
		.amdhsa_float_denorm_mode_32 3
		.amdhsa_float_denorm_mode_16_64 3
		.amdhsa_fp16_overflow 0
		.amdhsa_workgroup_processor_mode 1
		.amdhsa_memory_ordered 1
		.amdhsa_forward_progress 0
		.amdhsa_round_robin_scheduling 0
		.amdhsa_exception_fp_ieee_invalid_op 0
		.amdhsa_exception_fp_denorm_src 0
		.amdhsa_exception_fp_ieee_div_zero 0
		.amdhsa_exception_fp_ieee_overflow 0
		.amdhsa_exception_fp_ieee_underflow 0
		.amdhsa_exception_fp_ieee_inexact 0
		.amdhsa_exception_int_div_zero 0
	.end_amdhsa_kernel
	.text
.Lfunc_end0:
	.size	fft_rtc_fwd_len476_factors_17_2_7_2_wgs_102_tpt_34_halfLds_dp_op_CI_CI_unitstride_sbrr_C2R_dirReg, .Lfunc_end0-fft_rtc_fwd_len476_factors_17_2_7_2_wgs_102_tpt_34_halfLds_dp_op_CI_CI_unitstride_sbrr_C2R_dirReg
                                        ; -- End function
	.section	.AMDGPU.csdata,"",@progbits
; Kernel info:
; codeLenInByte = 13896
; NumSgprs: 58
; NumVgprs: 256
; ScratchSize: 104
; MemoryBound: 0
; FloatMode: 240
; IeeeMode: 1
; LDSByteSize: 0 bytes/workgroup (compile time only)
; SGPRBlocks: 7
; VGPRBlocks: 31
; NumSGPRsForWavesPerEU: 58
; NumVGPRsForWavesPerEU: 256
; Occupancy: 5
; WaveLimiterHint : 1
; COMPUTE_PGM_RSRC2:SCRATCH_EN: 1
; COMPUTE_PGM_RSRC2:USER_SGPR: 2
; COMPUTE_PGM_RSRC2:TRAP_HANDLER: 0
; COMPUTE_PGM_RSRC2:TGID_X_EN: 1
; COMPUTE_PGM_RSRC2:TGID_Y_EN: 0
; COMPUTE_PGM_RSRC2:TGID_Z_EN: 0
; COMPUTE_PGM_RSRC2:TIDIG_COMP_CNT: 0
	.text
	.p2alignl 7, 3214868480
	.fill 96, 4, 3214868480
	.type	__hip_cuid_8961538e2d4f3c32,@object ; @__hip_cuid_8961538e2d4f3c32
	.section	.bss,"aw",@nobits
	.globl	__hip_cuid_8961538e2d4f3c32
__hip_cuid_8961538e2d4f3c32:
	.byte	0                               ; 0x0
	.size	__hip_cuid_8961538e2d4f3c32, 1

	.ident	"AMD clang version 19.0.0git (https://github.com/RadeonOpenCompute/llvm-project roc-6.4.0 25133 c7fe45cf4b819c5991fe208aaa96edf142730f1d)"
	.section	".note.GNU-stack","",@progbits
	.addrsig
	.addrsig_sym __hip_cuid_8961538e2d4f3c32
	.amdgpu_metadata
---
amdhsa.kernels:
  - .args:
      - .actual_access:  read_only
        .address_space:  global
        .offset:         0
        .size:           8
        .value_kind:     global_buffer
      - .offset:         8
        .size:           8
        .value_kind:     by_value
      - .actual_access:  read_only
        .address_space:  global
        .offset:         16
        .size:           8
        .value_kind:     global_buffer
      - .actual_access:  read_only
        .address_space:  global
        .offset:         24
        .size:           8
        .value_kind:     global_buffer
      - .actual_access:  read_only
        .address_space:  global
        .offset:         32
        .size:           8
        .value_kind:     global_buffer
      - .offset:         40
        .size:           8
        .value_kind:     by_value
      - .actual_access:  read_only
        .address_space:  global
        .offset:         48
        .size:           8
        .value_kind:     global_buffer
      - .actual_access:  read_only
        .address_space:  global
        .offset:         56
        .size:           8
        .value_kind:     global_buffer
      - .offset:         64
        .size:           4
        .value_kind:     by_value
      - .actual_access:  read_only
        .address_space:  global
        .offset:         72
        .size:           8
        .value_kind:     global_buffer
      - .actual_access:  read_only
        .address_space:  global
        .offset:         80
        .size:           8
        .value_kind:     global_buffer
      - .actual_access:  read_only
        .address_space:  global
        .offset:         88
        .size:           8
        .value_kind:     global_buffer
      - .actual_access:  write_only
        .address_space:  global
        .offset:         96
        .size:           8
        .value_kind:     global_buffer
    .group_segment_fixed_size: 0
    .kernarg_segment_align: 8
    .kernarg_segment_size: 104
    .language:       OpenCL C
    .language_version:
      - 2
      - 0
    .max_flat_workgroup_size: 102
    .name:           fft_rtc_fwd_len476_factors_17_2_7_2_wgs_102_tpt_34_halfLds_dp_op_CI_CI_unitstride_sbrr_C2R_dirReg
    .private_segment_fixed_size: 104
    .sgpr_count:     58
    .sgpr_spill_count: 0
    .symbol:         fft_rtc_fwd_len476_factors_17_2_7_2_wgs_102_tpt_34_halfLds_dp_op_CI_CI_unitstride_sbrr_C2R_dirReg.kd
    .uniform_work_group_size: 1
    .uses_dynamic_stack: false
    .vgpr_count:     256
    .vgpr_spill_count: 25
    .wavefront_size: 32
    .workgroup_processor_mode: 1
amdhsa.target:   amdgcn-amd-amdhsa--gfx1201
amdhsa.version:
  - 1
  - 2
...

	.end_amdgpu_metadata
